;; amdgpu-corpus repo=ROCm/rocFFT kind=compiled arch=gfx1030 opt=O3
	.text
	.amdgcn_target "amdgcn-amd-amdhsa--gfx1030"
	.amdhsa_code_object_version 6
	.protected	bluestein_single_back_len1274_dim1_half_op_CI_CI ; -- Begin function bluestein_single_back_len1274_dim1_half_op_CI_CI
	.globl	bluestein_single_back_len1274_dim1_half_op_CI_CI
	.p2align	8
	.type	bluestein_single_back_len1274_dim1_half_op_CI_CI,@function
bluestein_single_back_len1274_dim1_half_op_CI_CI: ; @bluestein_single_back_len1274_dim1_half_op_CI_CI
; %bb.0:
	s_load_dwordx4 s[8:11], s[4:5], 0x28
	v_mul_u32_u24_e32 v1, 0x169, v0
	v_mov_b32_e32 v23, 0
	s_mov_b32 s0, exec_lo
	v_lshrrev_b32_e32 v1, 16, v1
	v_add_nc_u32_e32 v22, s6, v1
	s_waitcnt lgkmcnt(0)
	v_cmpx_gt_u64_e64 s[8:9], v[22:23]
	s_cbranch_execz .LBB0_23
; %bb.1:
	s_load_dwordx4 s[0:3], s[4:5], 0x18
	v_mul_lo_u16 v1, 0xb6, v1
	v_sub_nc_u16 v7, v0, v1
	v_and_b32_e32 v48, 0xffff, v7
	v_lshlrev_b32_e32 v43, 2, v48
	s_waitcnt lgkmcnt(0)
	s_load_dwordx4 s[12:15], s[0:1], 0x0
	s_load_dwordx2 s[0:1], s[4:5], 0x0
	s_waitcnt lgkmcnt(0)
	v_mad_u64_u32 v[0:1], null, s14, v22, 0
	v_mad_u64_u32 v[2:3], null, s12, v48, 0
	v_add_co_u32 v35, s6, s0, v43
	v_add_co_ci_u32_e64 v36, null, s1, 0, s6
	s_mul_i32 s7, s13, 0x27d
	v_add_co_u32 v20, vcc_lo, 0x800, v35
	v_mad_u64_u32 v[4:5], null, s15, v22, v[1:2]
	v_add_co_ci_u32_e32 v21, vcc_lo, 0, v36, vcc_lo
	s_mul_hi_u32 s9, s12, 0x27d
	s_mul_i32 s6, s12, 0x27d
	s_mul_i32 s14, s13, 0xfffffe39
	s_add_i32 s7, s9, s7
	v_mad_u64_u32 v[5:6], null, s13, v48, v[3:4]
	v_mov_b32_e32 v1, v4
	s_mul_hi_u32 s13, s12, 0xfffffe39
	s_mul_i32 s8, s12, 0xfffffe39
	s_sub_i32 s9, s13, s12
	s_lshl_b64 s[12:13], s[6:7], 2
	v_lshlrev_b64 v[0:1], 2, v[0:1]
	v_mov_b32_e32 v3, v5
	s_add_i32 s9, s9, s14
	s_clause 0x2
	global_load_dword v50, v43, s[0:1]
	global_load_dword v47, v43, s[0:1] offset:728
	global_load_dword v49, v[20:21], off offset:500
	s_lshl_b64 s[14:15], s[8:9], 2
	s_load_dwordx2 s[6:7], s[4:5], 0x38
	v_lshlrev_b64 v[2:3], 2, v[2:3]
	v_add_co_u32 v0, vcc_lo, s10, v0
	v_add_co_ci_u32_e32 v1, vcc_lo, s11, v1, vcc_lo
	v_add_co_u32 v0, vcc_lo, v0, v2
	v_add_co_ci_u32_e32 v1, vcc_lo, v1, v3, vcc_lo
	;; [unrolled: 2-line block ×3, first 2 shown]
	s_clause 0x1
	global_load_dword v6, v[0:1], off
	global_load_dword v8, v[2:3], off
	v_add_co_u32 v0, vcc_lo, v2, s14
	v_add_co_ci_u32_e32 v1, vcc_lo, s15, v3, vcc_lo
	v_add_co_u32 v2, vcc_lo, v0, s12
	v_add_co_ci_u32_e32 v3, vcc_lo, s13, v1, vcc_lo
	global_load_dword v9, v[0:1], off
	v_add_co_u32 v4, vcc_lo, v2, s14
	global_load_dword v2, v[2:3], off
	v_add_co_ci_u32_e32 v5, vcc_lo, s15, v3, vcc_lo
	v_add_co_u32 v0, vcc_lo, v4, s12
	v_add_co_ci_u32_e32 v1, vcc_lo, s13, v5, vcc_lo
	global_load_dword v46, v[20:21], off offset:1228
	global_load_dword v3, v[4:5], off
	global_load_dword v4, v[0:1], off
	s_clause 0x1
	global_load_dword v45, v43, s[0:1] offset:1456
	global_load_dword v44, v[20:21], off offset:1956
	s_load_dwordx4 s[8:11], s[2:3], 0x0
	v_cmp_gt_u16_e32 vcc_lo, 0x5b, v7
	s_waitcnt vmcnt(8)
	v_lshrrev_b32_e32 v5, 16, v6
	v_mul_f16_sdwa v10, v50, v6 dst_sel:DWORD dst_unused:UNUSED_PAD src0_sel:WORD_1 src1_sel:DWORD
	s_waitcnt vmcnt(7)
	v_lshrrev_b32_e32 v12, 16, v8
	v_mul_f16_sdwa v13, v49, v8 dst_sel:DWORD dst_unused:UNUSED_PAD src0_sel:WORD_1 src1_sel:DWORD
	v_mul_f16_sdwa v11, v50, v5 dst_sel:DWORD dst_unused:UNUSED_PAD src0_sel:WORD_1 src1_sel:DWORD
	v_fma_f16 v5, v50, v5, -v10
	v_mul_f16_sdwa v10, v49, v12 dst_sel:DWORD dst_unused:UNUSED_PAD src0_sel:WORD_1 src1_sel:DWORD
	v_fma_f16 v12, v49, v12, -v13
	v_fmac_f16_e32 v11, v50, v6
	s_waitcnt vmcnt(6)
	v_lshrrev_b32_e32 v6, 16, v9
	v_mul_f16_sdwa v13, v47, v9 dst_sel:DWORD dst_unused:UNUSED_PAD src0_sel:WORD_1 src1_sel:DWORD
	v_pack_b32_f16 v5, v11, v5
	v_fmac_f16_e32 v10, v49, v8
	s_waitcnt vmcnt(5)
	v_lshrrev_b32_e32 v8, 16, v2
	v_mul_f16_sdwa v11, v47, v6 dst_sel:DWORD dst_unused:UNUSED_PAD src0_sel:WORD_1 src1_sel:DWORD
	v_fma_f16 v6, v47, v6, -v13
	s_waitcnt vmcnt(4)
	v_mul_f16_sdwa v13, v46, v2 dst_sel:DWORD dst_unused:UNUSED_PAD src0_sel:WORD_1 src1_sel:DWORD
	v_mul_f16_sdwa v14, v46, v8 dst_sel:DWORD dst_unused:UNUSED_PAD src0_sel:WORD_1 src1_sel:DWORD
	v_fmac_f16_e32 v11, v47, v9
	s_waitcnt vmcnt(3)
	v_lshrrev_b32_e32 v9, 16, v3
	s_waitcnt vmcnt(2)
	v_lshrrev_b32_e32 v15, 16, v4
	v_fma_f16 v8, v46, v8, -v13
	s_waitcnt vmcnt(1)
	v_mul_f16_sdwa v13, v45, v3 dst_sel:DWORD dst_unused:UNUSED_PAD src0_sel:WORD_1 src1_sel:DWORD
	s_waitcnt vmcnt(0)
	v_mul_f16_sdwa v17, v44, v4 dst_sel:DWORD dst_unused:UNUSED_PAD src0_sel:WORD_1 src1_sel:DWORD
	v_mul_f16_sdwa v16, v45, v9 dst_sel:DWORD dst_unused:UNUSED_PAD src0_sel:WORD_1 src1_sel:DWORD
	;; [unrolled: 1-line block ×3, first 2 shown]
	v_fmac_f16_e32 v14, v46, v2
	v_fma_f16 v2, v45, v9, -v13
	v_pack_b32_f16 v6, v11, v6
	v_fmac_f16_e32 v16, v45, v3
	v_fma_f16 v3, v44, v15, -v17
	v_fmac_f16_e32 v18, v44, v4
	v_pack_b32_f16 v4, v10, v12
	v_pack_b32_f16 v8, v14, v8
	;; [unrolled: 1-line block ×3, first 2 shown]
	v_add_nc_u32_e32 v9, 0xc00, v43
	v_pack_b32_f16 v3, v18, v3
	ds_write_b32 v43, v4 offset:2548
	ds_write2_b32 v43, v5, v6 offset1:182
	ds_write_b32 v43, v2 offset:1456
	ds_write2_b32 v9, v8, v3 offset0:51 offset1:233
	s_and_saveexec_b32 s1, vcc_lo
	s_cbranch_execz .LBB0_3
; %bb.2:
	v_add_co_u32 v0, s0, v0, s14
	v_add_co_ci_u32_e64 v1, s0, s15, v1, s0
	v_add_co_u32 v2, s0, v0, s12
	v_add_co_ci_u32_e64 v3, s0, s13, v1, s0
	global_load_dword v4, v[0:1], off
	global_load_dword v2, v[2:3], off
	v_add_co_u32 v0, s0, 0x1000, v35
	v_add_co_ci_u32_e64 v1, s0, 0, v36, s0
	s_clause 0x1
	global_load_dword v3, v[20:21], off offset:136
	global_load_dword v0, v[0:1], off offset:636
	s_waitcnt vmcnt(3)
	v_lshrrev_b32_e32 v1, 16, v4
	s_waitcnt vmcnt(2)
	v_lshrrev_b32_e32 v5, 16, v2
	s_waitcnt vmcnt(1)
	v_mul_f16_sdwa v6, v3, v4 dst_sel:DWORD dst_unused:UNUSED_PAD src0_sel:WORD_1 src1_sel:DWORD
	v_mul_f16_sdwa v7, v3, v1 dst_sel:DWORD dst_unused:UNUSED_PAD src0_sel:WORD_1 src1_sel:DWORD
	s_waitcnt vmcnt(0)
	v_mul_f16_sdwa v8, v0, v5 dst_sel:DWORD dst_unused:UNUSED_PAD src0_sel:WORD_1 src1_sel:DWORD
	v_mul_f16_sdwa v9, v0, v2 dst_sel:DWORD dst_unused:UNUSED_PAD src0_sel:WORD_1 src1_sel:DWORD
	v_fma_f16 v1, v3, v1, -v6
	v_fmac_f16_e32 v7, v3, v4
	v_fmac_f16_e32 v8, v0, v2
	v_fma_f16 v0, v0, v5, -v9
	v_pack_b32_f16 v1, v7, v1
	v_pack_b32_f16 v0, v8, v0
	ds_write_b32 v43, v1 offset:2184
	ds_write_b32 v43, v0 offset:4732
.LBB0_3:
	s_or_b32 exec_lo, exec_lo, s1
	v_add_nc_u32_e32 v2, 0x900, v43
	s_waitcnt lgkmcnt(0)
	s_barrier
	buffer_gl0_inv
	ds_read2_b32 v[0:1], v43 offset1:182
	ds_read2_b32 v[2:3], v2 offset0:61 offset1:243
	ds_read_b32 v4, v43 offset:1456
	ds_read_b32 v5, v43 offset:4004
                                        ; implicit-def: $vgpr6
                                        ; implicit-def: $vgpr7
	s_and_saveexec_b32 s0, vcc_lo
	s_cbranch_execz .LBB0_5
; %bb.4:
	ds_read_b32 v6, v43 offset:2184
	ds_read_b32 v7, v43 offset:4732
.LBB0_5:
	s_or_b32 exec_lo, exec_lo, s0
	s_load_dwordx2 s[2:3], s[4:5], 0x8
	v_add_co_u32 v8, null, 0x222, v48
	s_waitcnt lgkmcnt(0)
	v_pk_add_f16 v13, v0, v2 neg_lo:[0,1] neg_hi:[0,1]
	v_pk_add_f16 v15, v6, v7 neg_lo:[0,1] neg_hi:[0,1]
	v_lshlrev_b16 v2, 1, v48
	v_mov_b32_e32 v7, 2
	v_pk_add_f16 v19, v1, v3 neg_lo:[0,1] neg_hi:[0,1]
	v_pk_add_f16 v17, v4, v5 neg_lo:[0,1] neg_hi:[0,1]
	v_lshlrev_b32_e32 v37, 3, v48
	v_pk_fma_f16 v14, v6, 2.0, v15 op_sel_hi:[1,0,1] neg_lo:[0,0,1] neg_hi:[0,0,1]
	v_lshlrev_b32_sdwa v54, v7, v2 dst_sel:DWORD dst_unused:UNUSED_PAD src0_sel:DWORD src1_sel:WORD_0
	v_pk_fma_f16 v12, v0, 2.0, v13 op_sel_hi:[1,0,1] neg_lo:[0,0,1] neg_hi:[0,0,1]
	v_pk_fma_f16 v18, v1, 2.0, v19 op_sel_hi:[1,0,1] neg_lo:[0,0,1] neg_hi:[0,0,1]
	;; [unrolled: 1-line block ×3, first 2 shown]
	v_lshlrev_b32_e32 v53, 3, v8
	v_add_nc_u32_e32 v0, 0x400, v37
	s_barrier
	buffer_gl0_inv
	ds_write_b64 v54, v[12:13]
	ds_write2_b64 v0, v[18:19], v[16:17] offset0:54 offset1:236
	s_and_saveexec_b32 s0, vcc_lo
	s_cbranch_execz .LBB0_7
; %bb.6:
	ds_write_b64 v53, v[14:15]
.LBB0_7:
	s_or_b32 exec_lo, exec_lo, s0
	v_cmp_gt_u16_e64 s0, 0x62, v48
	v_lshrrev_b32_e32 v52, 16, v18
	v_lshrrev_b32_e32 v32, 16, v16
	;; [unrolled: 1-line block ×3, first 2 shown]
	s_waitcnt lgkmcnt(0)
	s_barrier
	buffer_gl0_inv
                                        ; implicit-def: $vgpr25
                                        ; implicit-def: $vgpr31
                                        ; implicit-def: $vgpr38
                                        ; implicit-def: $vgpr23
                                        ; implicit-def: $vgpr29
                                        ; implicit-def: $vgpr39
                                        ; implicit-def: $vgpr30
                                        ; implicit-def: $vgpr56
	s_and_saveexec_b32 s1, s0
	s_cbranch_execz .LBB0_9
; %bb.8:
	v_add_nc_u32_e32 v0, 0x200, v43
	v_add_nc_u32_e32 v1, 0x400, v43
	;; [unrolled: 1-line block ×4, first 2 shown]
	ds_read2_b32 v[12:13], v43 offset1:98
	ds_read2_b32 v[18:19], v0 offset0:68 offset1:166
	ds_read2_b32 v[16:17], v1 offset0:136 offset1:234
	;; [unrolled: 1-line block ×4, first 2 shown]
	v_add_nc_u32_e32 v0, 0x800, v43
	ds_read_b32 v30, v43 offset:4704
	ds_read2_b32 v[14:15], v0 offset0:76 offset1:174
	s_waitcnt lgkmcnt(5)
	v_lshrrev_b32_e32 v52, 16, v18
	s_waitcnt lgkmcnt(4)
	v_lshrrev_b32_e32 v32, 16, v16
	v_lshrrev_b32_e32 v27, 16, v12
	s_waitcnt lgkmcnt(3)
	v_lshrrev_b32_e32 v31, 16, v25
	;; [unrolled: 3-line block ×4, first 2 shown]
.LBB0_9:
	s_or_b32 exec_lo, exec_lo, s1
	v_and_b32_e32 v51, 1, v48
	v_lshrrev_b32_e32 v57, 16, v13
	v_lshrrev_b32_e32 v58, 16, v19
	;; [unrolled: 1-line block ×3, first 2 shown]
	s_waitcnt lgkmcnt(0)
	v_lshrrev_b32_e32 v60, 16, v14
	v_mul_u32_u24_e32 v0, 12, v51
	v_lshrrev_b32_e32 v61, 16, v15
	v_lshlrev_b32_e32 v8, 2, v0
	s_clause 0x2
	global_load_dwordx4 v[4:7], v8, s[2:3]
	global_load_dwordx4 v[0:3], v8, s[2:3] offset:16
	global_load_dwordx4 v[8:11], v8, s[2:3] offset:32
	s_waitcnt vmcnt(0)
	s_barrier
	buffer_gl0_inv
	v_mul_f16_sdwa v66, v13, v4 dst_sel:DWORD dst_unused:UNUSED_PAD src0_sel:DWORD src1_sel:WORD_1
	v_mul_f16_sdwa v67, v57, v4 dst_sel:DWORD dst_unused:UNUSED_PAD src0_sel:DWORD src1_sel:WORD_1
	;; [unrolled: 1-line block ×7, first 2 shown]
	v_fmac_f16_e32 v66, v57, v4
	v_fmac_f16_e32 v41, v56, v11
	v_mul_f16_sdwa v68, v52, v5 dst_sel:DWORD dst_unused:UNUSED_PAD src0_sel:DWORD src1_sel:WORD_1
	v_mul_f16_sdwa v69, v58, v6 dst_sel:DWORD dst_unused:UNUSED_PAD src0_sel:DWORD src1_sel:WORD_1
	;; [unrolled: 1-line block ×8, first 2 shown]
	v_fmac_f16_e32 v65, v52, v5
	v_fma_f16 v71, v13, v4, -v67
	v_fma_f16 v13, v30, v11, -v80
	v_fmac_f16_e32 v34, v39, v10
	v_fmac_f16_e32 v33, v29, v9
	v_sub_f16_e32 v29, v66, v41
	v_mul_f16_sdwa v64, v19, v6 dst_sel:DWORD dst_unused:UNUSED_PAD src0_sel:DWORD src1_sel:WORD_1
	v_mul_f16_sdwa v55, v14, v1 dst_sel:DWORD dst_unused:UNUSED_PAD src0_sel:DWORD src1_sel:WORD_1
	;; [unrolled: 1-line block ×5, first 2 shown]
	v_fma_f16 v70, v18, v5, -v68
	v_fma_f16 v68, v19, v6, -v69
	v_fmac_f16_e32 v63, v32, v7
	v_fma_f16 v67, v17, v0, -v73
	v_fma_f16 v19, v14, v1, -v74
	v_fmac_f16_e32 v28, v38, v8
	v_fma_f16 v14, v24, v10, -v79
	v_add_f16_e32 v73, v71, v13
	v_sub_f16_e32 v30, v65, v34
	v_sub_f16_e32 v52, v71, v13
	v_mul_f16_e32 v98, 0xbbf1, v29
	v_mul_f16_e32 v110, 0xbb7b, v29
	v_mul_f16_sdwa v72, v32, v7 dst_sel:DWORD dst_unused:UNUSED_PAD src0_sel:DWORD src1_sel:WORD_1
	v_mul_f16_sdwa v62, v17, v0 dst_sel:DWORD dst_unused:UNUSED_PAD src0_sel:DWORD src1_sel:WORD_1
	;; [unrolled: 1-line block ×4, first 2 shown]
	v_fmac_f16_e32 v64, v58, v6
	v_fma_f16 v18, v15, v2, -v75
	v_fmac_f16_e32 v42, v61, v2
	v_fma_f16 v17, v25, v3, -v76
	v_fma_f16 v15, v23, v9, -v78
	v_add_f16_e32 v24, v70, v14
	v_sub_f16_e32 v32, v63, v28
	v_add_f16_e32 v138, v66, v41
	v_sub_f16_e32 v56, v70, v14
	v_mul_f16_e32 v92, 0xba95, v29
	v_mul_f16_e32 v91, 0xbb7b, v30
	;; [unrolled: 1-line block ×16, first 2 shown]
	v_fmamk_f16 v30, v73, 0x2fb7, v98
	v_fmamk_f16 v61, v73, 0xb5ac, v110
	v_fma_f16 v69, v16, v7, -v72
	v_fmac_f16_e32 v62, v59, v0
	v_fmac_f16_e32 v55, v60, v1
	;; [unrolled: 1-line block ×3, first 2 shown]
	v_fma_f16 v16, v26, v8, -v77
	v_sub_f16_e32 v31, v64, v33
	v_add_f16_e32 v127, v65, v34
	v_sub_f16_e32 v57, v68, v15
	v_mul_f16_e32 v87, 0x394e, v32
	v_mul_f16_e32 v94, 0x3770, v32
	;; [unrolled: 1-line block ×12, first 2 shown]
	v_fmamk_f16 v29, v73, 0x388b, v92
	v_fmamk_f16 v32, v24, 0xbbc4, v97
	;; [unrolled: 1-line block ×5, first 2 shown]
	v_fma_f16 v165, v138, 0x3b15, -v83
	v_fma_f16 v167, v138, 0x388b, -v104
	;; [unrolled: 1-line block ×5, first 2 shown]
	v_fmamk_f16 v175, v73, 0xbbc4, v145
	v_fma_f16 v177, v138, 0xbbc4, -v151
	v_add_f16_e32 v30, v12, v30
	v_add_f16_e32 v61, v12, v61
	v_add_f16_e32 v23, v68, v15
	v_sub_f16_e32 v38, v62, v40
	v_sub_f16_e32 v39, v55, v42
	v_add_f16_e32 v130, v64, v33
	v_sub_f16_e32 v58, v69, v16
	v_mul_f16_e32 v90, 0xb3a8, v31
	v_mul_f16_e32 v96, 0x3b7b, v31
	;; [unrolled: 1-line block ×12, first 2 shown]
	v_fmamk_f16 v31, v24, 0xb5ac, v91
	v_fmamk_f16 v154, v24, 0x2fb7, v131
	v_fmamk_f16 v164, v24, 0x388b, v76
	v_fma_f16 v166, v127, 0x388b, -v79
	v_fma_f16 v168, v127, 0xb5ac, -v101
	;; [unrolled: 1-line block ×5, first 2 shown]
	v_fmamk_f16 v176, v24, 0x3b15, v144
	v_fma_f16 v178, v127, 0x3b15, -v150
	v_add_f16_e32 v29, v12, v29
	v_add_f16_e32 v153, v12, v153
	;; [unrolled: 1-line block ×14, first 2 shown]
	v_sub_f16_e32 v59, v67, v17
	v_mul_f16_e32 v75, 0x3bf1, v38
	v_mul_f16_e32 v93, 0xba95, v38
	;; [unrolled: 1-line block ×18, first 2 shown]
	v_fmamk_f16 v38, v23, 0xbbc4, v90
	v_fmamk_f16 v39, v23, 0xb5ac, v96
	v_fmamk_f16 v155, v23, 0x3b15, v107
	v_fmamk_f16 v156, v23, 0x388b, v129
	v_fmamk_f16 v179, v23, 0x2fb7, v80
	v_fma_f16 v180, v130, 0x2fb7, -v85
	v_fma_f16 v181, v130, 0xbbc4, -v99
	v_fma_f16 v182, v130, 0xb5ac, -v114
	v_fma_f16 v183, v130, 0x3b15, -v126
	v_fma_f16 v184, v130, 0x388b, -v137
	v_fmamk_f16 v185, v23, 0xb9fd, v143
	v_fma_f16 v186, v130, 0xb9fd, -v149
	v_add_f16_e32 v29, v31, v29
	v_add_f16_e32 v153, v154, v153
	;; [unrolled: 1-line block ×12, first 2 shown]
	v_sub_f16_e32 v60, v19, v18
	v_mul_f16_e32 v88, 0xb94e, v59
	v_mul_f16_e32 v103, 0x3bf1, v59
	;; [unrolled: 1-line block ×6, first 2 shown]
	v_fmamk_f16 v52, v25, 0xb9fd, v87
	v_fmamk_f16 v56, v25, 0x3b15, v94
	;; [unrolled: 1-line block ×5, first 2 shown]
	v_fma_f16 v188, v121, 0xb5ac, -v86
	v_fma_f16 v189, v121, 0xb9fd, -v102
	;; [unrolled: 1-line block ×5, first 2 shown]
	v_fmamk_f16 v193, v25, 0x388b, v142
	v_fma_f16 v194, v121, 0x388b, -v148
	v_add_f16_e32 v29, v38, v29
	v_add_f16_e32 v30, v39, v30
	;; [unrolled: 1-line block ×14, first 2 shown]
	v_mul_f16_e32 v89, 0xb3a8, v60
	v_mul_f16_e32 v95, 0x3770, v60
	v_mul_f16_e32 v109, 0xb94e, v60
	v_mul_f16_e32 v124, 0x3a95, v60
	v_mul_f16_e32 v134, 0xbb7b, v60
	v_mul_f16_e32 v147, 0x3bf1, v60
	v_fmamk_f16 v57, v26, 0x2fb7, v75
	v_fmamk_f16 v58, v26, 0x388b, v93
	;; [unrolled: 1-line block ×5, first 2 shown]
	v_fma_f16 v196, v118, 0xb9fd, -v88
	v_fma_f16 v197, v118, 0x2fb7, -v103
	;; [unrolled: 1-line block ×5, first 2 shown]
	v_fmamk_f16 v201, v26, 0xb5ac, v141
	v_fma_f16 v31, v118, 0xb5ac, -v146
	v_add_f16_e32 v29, v52, v29
	v_add_f16_e32 v30, v56, v30
	;; [unrolled: 1-line block ×12, first 2 shown]
	v_fmamk_f16 v59, v72, 0x3b15, v74
	v_fmamk_f16 v60, v72, 0xb9fd, v77
	;; [unrolled: 1-line block ×5, first 2 shown]
	v_fma_f16 v61, v116, 0xbbc4, -v89
	v_fma_f16 v154, v116, 0x3b15, -v95
	;; [unrolled: 1-line block ×5, first 2 shown]
	v_fmamk_f16 v170, v72, 0x2fb7, v133
	v_fma_f16 v172, v116, 0x2fb7, -v147
	v_add_f16_e32 v29, v57, v29
	v_add_f16_e32 v30, v58, v30
	;; [unrolled: 1-line block ×24, first 2 shown]
	v_lshrrev_b32_e32 v52, 1, v48
	s_and_saveexec_b32 s1, s0
	s_cbranch_execz .LBB0_11
; %bb.10:
	v_mul_f16_e32 v153, 0x3b15, v138
	v_mul_f16_e32 v155, 0x388b, v138
	;; [unrolled: 1-line block ×10, first 2 shown]
	v_add_f16_e32 v138, v151, v138
	v_mul_f16_e32 v151, 0x3b15, v127
	v_mul_f16_e32 v160, 0xb9fd, v73
	;; [unrolled: 1-line block ×4, first 2 shown]
	v_add_f16_e32 v138, v27, v138
	v_add_f16_e32 v150, v150, v151
	v_mul_f16_e32 v151, 0xb9fd, v130
	v_mul_f16_e32 v164, 0xb5ac, v24
	v_mul_f16_e32 v166, 0xbbc4, v24
	v_mul_f16_e32 v168, 0xb9fd, v24
	v_mul_f16_e32 v170, 0x2fb7, v24
	v_mul_f16_e32 v24, 0x3b15, v24
	v_add_f16_e32 v138, v150, v138
	v_add_f16_e32 v149, v149, v151
	v_mul_f16_e32 v151, 0x388b, v121
	v_sub_f16_e32 v73, v73, v145
	v_sub_f16_e32 v92, v154, v92
	v_mul_f16_e32 v163, 0x388b, v127
	v_mul_f16_e32 v165, 0xb5ac, v127
	;; [unrolled: 1-line block ×8, first 2 shown]
	v_add_f16_e32 v138, v149, v138
	v_mul_f16_e32 v149, 0x3b15, v23
	v_add_f16_e32 v148, v148, v151
	v_mul_f16_e32 v145, 0x388b, v23
	v_sub_f16_e32 v24, v24, v144
	v_mul_f16_e32 v144, 0xb5ac, v118
	v_mul_f16_e32 v23, 0xb9fd, v23
	v_add_f16_e32 v73, v12, v73
	v_add_f16_e32 v140, v140, v161
	;; [unrolled: 1-line block ×3, first 2 shown]
	v_sub_f16_e32 v91, v164, v91
	v_add_f16_e32 v138, v148, v138
	v_add_f16_e32 v144, v146, v144
	;; [unrolled: 1-line block ×3, first 2 shown]
	v_mul_f16_e32 v73, 0x2fb7, v116
	v_sub_f16_e32 v23, v23, v143
	v_mul_f16_e32 v143, 0xb9fd, v25
	v_add_f16_e32 v127, v139, v127
	v_add_f16_e32 v140, v27, v140
	v_sub_f16_e32 v132, v160, v132
	v_add_f16_e32 v91, v91, v92
	v_sub_f16_e32 v90, v173, v90
	v_add_f16_e32 v71, v12, v71
	v_add_f16_e32 v66, v27, v66
	v_mul_f16_e32 v172, 0x2fb7, v130
	v_mul_f16_e32 v150, 0xbbc4, v130
	;; [unrolled: 1-line block ×5, first 2 shown]
	v_add_f16_e32 v138, v144, v138
	v_mul_f16_e32 v144, 0x388b, v25
	v_add_f16_e32 v73, v147, v73
	v_add_f16_e32 v127, v127, v140
	v_mul_f16_e32 v140, 0x2fb7, v26
	v_sub_f16_e32 v131, v170, v131
	v_add_f16_e32 v132, v12, v132
	v_add_f16_e32 v90, v90, v91
	v_sub_f16_e32 v87, v143, v87
	v_add_f16_e32 v70, v71, v70
	v_add_f16_e32 v65, v66, v65
	v_mul_f16_e32 v148, 0xb5ac, v25
	v_add_f16_e32 v23, v23, v24
	v_mul_f16_e32 v24, 0x3b15, v25
	v_sub_f16_e32 v142, v144, v142
	v_add_f16_e32 v73, v73, v138
	v_mul_f16_e32 v138, 0x2fb7, v25
	v_mul_f16_e32 v25, 0xbbc4, v25
	v_add_f16_e32 v130, v137, v130
	v_add_f16_e32 v131, v131, v132
	v_sub_f16_e32 v129, v145, v129
	v_sub_f16_e32 v98, v156, v98
	v_add_f16_e32 v71, v87, v90
	v_sub_f16_e32 v66, v140, v75
	v_add_f16_e32 v68, v70, v68
	v_add_f16_e32 v64, v65, v64
	v_mul_f16_e32 v139, 0xb5ac, v26
	v_add_f16_e32 v23, v142, v23
	v_mul_f16_e32 v142, 0xb9fd, v26
	v_mul_f16_e32 v160, 0x388b, v26
	v_add_f16_e32 v127, v130, v127
	v_mul_f16_e32 v130, 0xbbc4, v26
	v_mul_f16_e32 v26, 0x3b15, v26
	v_add_f16_e32 v128, v128, v159
	v_add_f16_e32 v129, v129, v131
	v_sub_f16_e32 v25, v25, v123
	v_add_f16_e32 v112, v112, v157
	v_add_f16_e32 v98, v12, v98
	v_sub_f16_e32 v97, v166, v97
	v_add_f16_e32 v104, v104, v155
	v_add_f16_e32 v65, v66, v71
	;; [unrolled: 1-line block ×5, first 2 shown]
	v_mul_f16_e32 v146, 0xb5ac, v121
	v_mul_f16_e32 v147, 0xb9fd, v121
	;; [unrolled: 1-line block ×5, first 2 shown]
	v_add_f16_e32 v128, v27, v128
	v_add_f16_e32 v25, v25, v129
	v_sub_f16_e32 v26, v26, v119
	v_add_f16_e32 v112, v27, v112
	v_add_f16_e32 v97, v97, v98
	;; [unrolled: 1-line block ×6, first 2 shown]
	v_sub_f16_e32 v139, v139, v141
	v_mul_f16_e32 v141, 0xb9fd, v118
	v_mul_f16_e32 v137, 0x2fb7, v118
	;; [unrolled: 1-line block ×3, first 2 shown]
	v_add_f16_e32 v121, v136, v121
	v_mul_f16_e32 v136, 0xbbc4, v118
	v_mul_f16_e32 v118, 0x3b15, v118
	v_add_f16_e32 v25, v26, v25
	v_sub_f16_e32 v26, v158, v110
	v_sub_f16_e32 v64, v152, v78
	v_add_f16_e32 v67, v79, v163
	v_add_f16_e32 v19, v66, v19
	;; [unrolled: 1-line block ×5, first 2 shown]
	v_mul_f16_e32 v123, 0xb5ac, v116
	v_add_f16_e32 v26, v12, v26
	v_sub_f16_e32 v108, v168, v108
	v_add_f16_e32 v111, v111, v167
	v_sub_f16_e32 v96, v174, v96
	v_add_f16_e32 v101, v101, v165
	v_add_f16_e32 v12, v12, v64
	v_sub_f16_e32 v63, v162, v76
	v_add_f16_e32 v27, v67, v27
	v_add_f16_e32 v62, v85, v172
	v_add_f16_e32 v18, v19, v18
	v_add_f16_e32 v42, v55, v42
	v_add_f16_e32 v118, v118, v121
	v_add_f16_e32 v123, v134, v123
	v_add_f16_e32 v125, v125, v169
	v_add_f16_e32 v26, v108, v26
	v_sub_f16_e32 v107, v149, v107
	v_add_f16_e32 v108, v111, v112
	v_add_f16_e32 v111, v114, v175
	v_add_f16_e32 v96, v96, v97
	v_sub_f16_e32 v24, v24, v94
	v_add_f16_e32 v94, v101, v98
	v_add_f16_e32 v97, v99, v150
	v_add_f16_e32 v12, v63, v12
	;; [unrolled: 4-line block ×3, first 2 shown]
	v_add_f16_e32 v18, v42, v40
	v_mul_f16_e32 v121, 0xb5ac, v72
	v_add_f16_e32 v118, v123, v118
	v_add_f16_e32 v119, v125, v128
	;; [unrolled: 1-line block ×4, first 2 shown]
	v_sub_f16_e32 v106, v138, v106
	v_add_f16_e32 v107, v111, v108
	v_add_f16_e32 v108, v115, v144
	v_add_f16_e32 v24, v24, v96
	v_sub_f16_e32 v93, v160, v93
	v_add_f16_e32 v94, v97, v94
	v_add_f16_e32 v96, v102, v147
	v_add_f16_e32 v12, v19, v12
	;; [unrolled: 4-line block ×3, first 2 shown]
	v_add_f16_e32 v18, v18, v28
	v_mul_f16_e32 v132, 0xbbc4, v72
	v_mul_f16_e32 v145, 0xbbc4, v116
	;; [unrolled: 1-line block ×4, first 2 shown]
	v_add_f16_e32 v23, v139, v23
	v_mul_f16_e32 v139, 0xb9fd, v72
	v_mul_f16_e32 v159, 0xb9fd, v116
	v_sub_f16_e32 v110, v121, v117
	v_add_f16_e32 v117, v123, v119
	v_add_f16_e32 v119, v120, v161
	;; [unrolled: 1-line block ×3, first 2 shown]
	v_sub_f16_e32 v105, v130, v105
	v_add_f16_e32 v106, v108, v107
	v_add_f16_e32 v107, v113, v170
	v_add_f16_e32 v24, v93, v24
	v_add_f16_e32 v93, v96, v94
	v_add_f16_e32 v94, v103, v137
	v_add_f16_e32 v12, v19, v12
	v_sub_f16_e32 v19, v142, v84
	v_add_f16_e32 v15, v16, v15
	v_add_f16_e32 v16, v17, v27
	;; [unrolled: 1-line block ×3, first 2 shown]
	v_mul_f16_e32 v131, 0x388b, v72
	v_mul_f16_e32 v116, 0x388b, v116
	v_add_f16_e32 v117, v119, v117
	v_add_f16_e32 v119, v122, v136
	;; [unrolled: 1-line block ×7, first 2 shown]
	v_sub_f16_e32 v75, v139, v77
	v_sub_f16_e32 v69, v127, v74
	v_add_f16_e32 v18, v89, v145
	v_add_f16_e32 v12, v19, v12
	;; [unrolled: 1-line block ×3, first 2 shown]
	v_mul_u32_u24_e32 v15, 26, v52
	v_add_f16_e32 v17, v17, v34
	v_sub_f16_e32 v19, v132, v81
	v_mul_f16_e32 v72, 0x2fb7, v72
	v_add_f16_e32 v112, v119, v117
	v_add_f16_e32 v114, v124, v116
	v_sub_f16_e32 v100, v131, v100
	v_add_f16_e32 v92, v104, v105
	v_add_f16_e32 v70, v93, v91
	;; [unrolled: 1-line block ×4, first 2 shown]
	v_or_b32_e32 v14, v15, v51
	v_add_f16_e32 v15, v17, v41
	v_add_f16_e32 v12, v19, v12
	;; [unrolled: 1-line block ×4, first 2 shown]
	v_sub_f16_e32 v72, v72, v133
	v_add_f16_e32 v111, v114, v112
	v_lshlrev_b32_e32 v14, 2, v14
	v_pack_b32_f16 v13, v13, v15
	v_pack_b32_f16 v12, v12, v16
	;; [unrolled: 1-line block ×4, first 2 shown]
	v_add_f16_e32 v17, v100, v26
	v_add_f16_e32 v18, v110, v25
	;; [unrolled: 1-line block ×3, first 2 shown]
	ds_write2_b32 v14, v13, v12 offset1:2
	ds_write2_b32 v14, v15, v16 offset0:4 offset1:6
	v_perm_b32 v16, v39, v38, 0x5040100
	v_pack_b32_f16 v12, v17, v111
	v_pack_b32_f16 v13, v18, v118
	;; [unrolled: 1-line block ×3, first 2 shown]
	v_perm_b32 v17, v56, v29, 0x5040100
	v_perm_b32 v18, v57, v30, 0x5040100
	;; [unrolled: 1-line block ×5, first 2 shown]
	ds_write2_b32 v14, v12, v13 offset0:8 offset1:10
	ds_write2_b32 v14, v15, v16 offset0:12 offset1:14
	;; [unrolled: 1-line block ×4, first 2 shown]
	ds_write_b32 v14, v24 offset:96
.LBB0_11:
	s_or_b32 exec_lo, exec_lo, s1
	v_and_b32_e32 v12, 0xff, v48
	s_waitcnt lgkmcnt(0)
	s_barrier
	buffer_gl0_inv
	v_add_nc_u32_e32 v42, 0x500, v43
	v_mul_lo_u16 v12, 0x4f, v12
	v_add_nc_u32_e32 v63, 0xb00, v43
	v_mov_b32_e32 v41, 0xb6
	v_mad_u64_u32 v[27:28], null, v48, 24, s[2:3]
	v_lshrrev_b16 v33, 11, v12
	v_mul_lo_u16 v12, v33, 26
	v_mul_u32_u24_sdwa v33, v33, v41 dst_sel:DWORD dst_unused:UNUSED_PAD src0_sel:WORD_0 src1_sel:DWORD
	v_sub_nc_u16 v12, v48, v12
	v_and_b32_e32 v34, 0xff, v12
	v_mad_u64_u32 v[16:17], null, v34, 24, s[2:3]
	v_add_lshl_u32 v55, v33, v34, 2
	s_clause 0x1
	global_load_dwordx4 v[12:15], v[16:17], off offset:96
	global_load_dwordx2 v[25:26], v[16:17], off offset:112
	ds_read2_b32 v[16:17], v43 offset1:182
	ds_read_b32 v40, v43 offset:4368
	ds_read2_b32 v[18:19], v42 offset0:44 offset1:226
	ds_read2_b32 v[23:24], v63 offset0:24 offset1:206
	s_waitcnt vmcnt(0) lgkmcnt(0)
	s_barrier
	buffer_gl0_inv
	v_lshrrev_b32_e32 v41, 16, v17
	v_lshrrev_b32_e32 v62, 16, v40
	v_lshrrev_b32_e32 v64, 16, v18
	v_lshrrev_b32_e32 v67, 16, v24
	v_lshrrev_b32_e32 v65, 16, v19
	v_lshrrev_b32_e32 v66, 16, v23
	v_mul_f16_sdwa v33, v41, v12 dst_sel:DWORD dst_unused:UNUSED_PAD src0_sel:DWORD src1_sel:WORD_1
	v_mul_f16_sdwa v34, v17, v12 dst_sel:DWORD dst_unused:UNUSED_PAD src0_sel:DWORD src1_sel:WORD_1
	;; [unrolled: 1-line block ×12, first 2 shown]
	v_fma_f16 v17, v17, v12, -v33
	v_fmac_f16_e32 v34, v41, v12
	v_fma_f16 v18, v18, v13, -v68
	v_fmac_f16_e32 v69, v64, v13
	;; [unrolled: 2-line block ×6, first 2 shown]
	v_add_f16_e32 v40, v17, v33
	v_add_f16_e32 v41, v34, v77
	v_sub_f16_e32 v17, v17, v33
	v_sub_f16_e32 v33, v34, v77
	v_add_f16_e32 v34, v18, v24
	v_add_f16_e32 v62, v69, v75
	v_sub_f16_e32 v18, v18, v24
	v_sub_f16_e32 v24, v69, v75
	;; [unrolled: 4-line block ×4, first 2 shown]
	v_sub_f16_e32 v40, v40, v64
	v_sub_f16_e32 v41, v41, v65
	;; [unrolled: 1-line block ×4, first 2 shown]
	v_add_f16_e32 v70, v19, v18
	v_add_f16_e32 v71, v23, v24
	v_sub_f16_e32 v72, v19, v18
	v_sub_f16_e32 v73, v23, v24
	;; [unrolled: 1-line block ×4, first 2 shown]
	v_add_f16_e32 v64, v64, v66
	v_add_f16_e32 v65, v65, v67
	v_sub_f16_e32 v19, v17, v19
	v_sub_f16_e32 v23, v33, v23
	v_add_f16_e32 v17, v70, v17
	v_add_f16_e32 v33, v71, v33
	v_mul_f16_e32 v40, 0x3a52, v40
	v_mul_f16_e32 v41, 0x3a52, v41
	;; [unrolled: 1-line block ×8, first 2 shown]
	v_add_f16_e32 v74, v16, v64
	v_add_f16_sdwa v16, v16, v65 dst_sel:DWORD dst_unused:UNUSED_PAD src0_sel:WORD_1 src1_sel:DWORD
	v_fmamk_f16 v34, v34, 0x2b26, v40
	v_fmamk_f16 v62, v62, 0x2b26, v41
	v_fma_f16 v66, v68, 0x39e0, -v66
	v_fma_f16 v67, v69, 0x39e0, -v67
	v_fma_f16 v40, v68, 0xb9e0, -v40
	v_fma_f16 v41, v69, 0xb9e0, -v41
	v_fmamk_f16 v68, v19, 0x3574, v70
	v_fmamk_f16 v69, v23, 0x3574, v71
	v_fma_f16 v18, v18, 0x3b00, -v70
	v_fma_f16 v24, v24, 0x3b00, -v71
	v_fma_f16 v19, v19, 0xb574, -v72
	v_fma_f16 v23, v23, 0xb574, -v73
	v_fmamk_f16 v64, v64, 0xbcab, v74
	v_fmamk_f16 v65, v65, 0xbcab, v16
	v_fmac_f16_e32 v68, 0x370e, v17
	v_fmac_f16_e32 v69, 0x370e, v33
	;; [unrolled: 1-line block ×6, first 2 shown]
	v_add_f16_e32 v17, v34, v64
	v_add_f16_e32 v33, v62, v65
	;; [unrolled: 1-line block ×7, first 2 shown]
	v_sub_f16_e32 v65, v33, v68
	v_add_f16_e32 v66, v23, v40
	v_sub_f16_e32 v67, v41, v19
	v_sub_f16_e32 v70, v34, v24
	v_add_f16_e32 v71, v18, v62
	v_add_f16_e32 v24, v24, v34
	v_sub_f16_e32 v18, v62, v18
	v_sub_f16_e32 v23, v40, v23
	v_add_f16_e32 v19, v19, v41
	v_sub_f16_e32 v17, v17, v69
	v_add_f16_e32 v33, v68, v33
	v_pack_b32_f16 v16, v74, v16
	v_pack_b32_f16 v34, v64, v65
	;; [unrolled: 1-line block ×7, first 2 shown]
	ds_write2_b32 v55, v16, v34 offset1:26
	ds_write2_b32 v55, v40, v41 offset0:52 offset1:78
	ds_write2_b32 v55, v18, v19 offset0:104 offset1:130
	ds_write_b32 v55, v17 offset:624
	s_waitcnt lgkmcnt(0)
	s_barrier
	buffer_gl0_inv
	s_clause 0x1
	global_load_dwordx4 v[16:19], v[27:28], off offset:720
	global_load_dwordx2 v[27:28], v[27:28], off offset:736
	ds_read2_b32 v[23:24], v43 offset1:182
	ds_read2_b32 v[33:34], v42 offset0:44 offset1:226
	ds_read2_b32 v[40:41], v63 offset0:24 offset1:206
	ds_read_b32 v62, v43 offset:4368
	s_waitcnt lgkmcnt(3)
	v_lshrrev_b32_e32 v64, 16, v24
	s_waitcnt lgkmcnt(2)
	v_lshrrev_b32_e32 v65, 16, v33
	s_waitcnt lgkmcnt(1)
	v_lshrrev_b32_e32 v68, 16, v41
	s_waitcnt lgkmcnt(0)
	v_lshrrev_b32_e32 v69, 16, v62
	v_lshrrev_b32_e32 v66, 16, v34
	v_lshrrev_b32_e32 v67, 16, v40
	s_waitcnt vmcnt(1)
	v_mul_f16_sdwa v70, v64, v16 dst_sel:DWORD dst_unused:UNUSED_PAD src0_sel:DWORD src1_sel:WORD_1
	v_mul_f16_sdwa v71, v24, v16 dst_sel:DWORD dst_unused:UNUSED_PAD src0_sel:DWORD src1_sel:WORD_1
	;; [unrolled: 1-line block ×4, first 2 shown]
	s_waitcnt vmcnt(0)
	v_mul_f16_sdwa v78, v68, v27 dst_sel:DWORD dst_unused:UNUSED_PAD src0_sel:DWORD src1_sel:WORD_1
	v_mul_f16_sdwa v79, v41, v27 dst_sel:DWORD dst_unused:UNUSED_PAD src0_sel:DWORD src1_sel:WORD_1
	;; [unrolled: 1-line block ×8, first 2 shown]
	v_fma_f16 v24, v24, v16, -v70
	v_fmac_f16_e32 v71, v64, v16
	v_fma_f16 v33, v33, v17, -v72
	v_fmac_f16_e32 v73, v65, v17
	;; [unrolled: 2-line block ×6, first 2 shown]
	v_add_f16_e32 v64, v24, v62
	v_add_f16_e32 v65, v71, v81
	v_add_f16_e32 v66, v33, v41
	v_add_f16_e32 v67, v73, v79
	v_sub_f16_e32 v24, v24, v62
	v_sub_f16_e32 v62, v71, v81
	;; [unrolled: 1-line block ×4, first 2 shown]
	v_add_f16_e32 v68, v34, v40
	v_add_f16_e32 v69, v75, v77
	v_sub_f16_e32 v34, v40, v34
	v_sub_f16_e32 v40, v77, v75
	v_add_f16_e32 v70, v66, v64
	v_add_f16_e32 v71, v67, v65
	v_sub_f16_e32 v72, v66, v64
	v_sub_f16_e32 v73, v67, v65
	;; [unrolled: 1-line block ×6, first 2 shown]
	v_add_f16_e32 v74, v34, v33
	v_add_f16_e32 v75, v40, v41
	v_sub_f16_e32 v76, v34, v33
	v_sub_f16_e32 v77, v40, v41
	;; [unrolled: 1-line block ×3, first 2 shown]
	v_add_f16_e32 v68, v68, v70
	v_add_f16_e32 v69, v69, v71
	v_sub_f16_e32 v41, v41, v62
	v_sub_f16_e32 v34, v24, v34
	;; [unrolled: 1-line block ×3, first 2 shown]
	v_add_f16_e32 v24, v74, v24
	v_add_f16_e32 v62, v75, v62
	v_mul_f16_e32 v64, 0x3a52, v64
	v_mul_f16_e32 v65, 0x3a52, v65
	v_mul_f16_e32 v70, 0x2b26, v66
	v_mul_f16_e32 v71, 0x2b26, v67
	v_mul_f16_e32 v74, 0xb846, v76
	v_mul_f16_e32 v75, 0xb846, v77
	v_mul_f16_e32 v76, 0x3b00, v33
	v_add_f16_e32 v78, v23, v68
	v_add_f16_sdwa v23, v23, v69 dst_sel:DWORD dst_unused:UNUSED_PAD src0_sel:WORD_1 src1_sel:DWORD
	v_mul_f16_e32 v77, 0x3b00, v41
	v_fmamk_f16 v66, v66, 0x2b26, v64
	v_fmamk_f16 v67, v67, 0x2b26, v65
	v_fma_f16 v70, v72, 0x39e0, -v70
	v_fma_f16 v71, v73, 0x39e0, -v71
	;; [unrolled: 1-line block ×4, first 2 shown]
	v_fmamk_f16 v72, v34, 0x3574, v74
	v_fmamk_f16 v73, v40, 0x3574, v75
	v_fma_f16 v33, v33, 0x3b00, -v74
	v_fma_f16 v34, v34, 0xb574, -v76
	v_fmamk_f16 v68, v68, 0xbcab, v78
	v_fmamk_f16 v69, v69, 0xbcab, v23
	v_fma_f16 v41, v41, 0x3b00, -v75
	v_fma_f16 v40, v40, 0xb574, -v77
	v_fmac_f16_e32 v72, 0x370e, v24
	v_fmac_f16_e32 v73, 0x370e, v62
	v_fmac_f16_e32 v33, 0x370e, v24
	v_fmac_f16_e32 v34, 0x370e, v24
	v_pack_b32_f16 v74, v78, v23
	v_add_f16_e32 v23, v66, v68
	v_add_f16_e32 v24, v67, v69
	v_fmac_f16_e32 v41, 0x370e, v62
	v_fmac_f16_e32 v40, 0x370e, v62
	v_add_f16_e32 v62, v70, v68
	v_add_f16_e32 v64, v64, v68
	;; [unrolled: 1-line block ×5, first 2 shown]
	v_sub_f16_e32 v68, v24, v72
	v_add_f16_e32 v69, v40, v64
	v_sub_f16_e32 v70, v65, v34
	v_sub_f16_e32 v71, v62, v41
	v_add_f16_e32 v75, v33, v66
	v_add_f16_e32 v41, v41, v62
	v_sub_f16_e32 v33, v66, v33
	v_sub_f16_e32 v40, v64, v40
	v_add_f16_e32 v34, v34, v65
	v_sub_f16_e32 v62, v23, v73
	v_add_f16_e32 v64, v72, v24
	v_add_co_u32 v23, s1, 0x1000, v35
	v_pack_b32_f16 v65, v67, v68
	v_add_co_ci_u32_e64 v24, s1, 0, v36, s1
	v_pack_b32_f16 v66, v69, v70
	v_pack_b32_f16 v67, v71, v75
	;; [unrolled: 1-line block ×5, first 2 shown]
	ds_write2_b32 v43, v74, v65 offset1:182
	ds_write2_b32 v42, v66, v67 offset0:44 offset1:226
	ds_write2_b32 v63, v33, v34 offset0:24 offset1:206
	ds_write_b32 v43, v40 offset:4368
	s_waitcnt lgkmcnt(0)
	s_barrier
	buffer_gl0_inv
	global_load_dword v42, v[23:24], off offset:1000
	v_add_co_u32 v33, s1, 0x13e8, v35
	v_add_co_ci_u32_e64 v34, s1, 0, v36, s1
	v_add_co_u32 v40, s1, 0x2000, v35
	v_add_co_ci_u32_e64 v41, s1, 0, v36, s1
	s_clause 0x3
	global_load_dword v63, v[33:34], off offset:728
	global_load_dword v65, v[40:41], off offset:180
	;; [unrolled: 1-line block ×4, first 2 shown]
	v_add_co_u32 v35, s1, 0x1800, v35
	v_add_co_ci_u32_e64 v36, s1, 0, v36, s1
	ds_read_b32 v70, v43 offset:1456
	v_add_nc_u32_e32 v72, 0x200, v43
	global_load_dword v68, v[35:36], off offset:1500
	ds_read2_b32 v[35:36], v43 offset1:182
	s_waitcnt lgkmcnt(0)
	v_lshrrev_b32_e32 v40, 16, v35
	s_waitcnt vmcnt(5)
	v_mul_f16_sdwa v41, v40, v42 dst_sel:DWORD dst_unused:UNUSED_PAD src0_sel:DWORD src1_sel:WORD_1
	v_mul_f16_sdwa v69, v35, v42 dst_sel:DWORD dst_unused:UNUSED_PAD src0_sel:DWORD src1_sel:WORD_1
	v_fma_f16 v35, v35, v42, -v41
	v_fmac_f16_e32 v69, v40, v42
	ds_read_b32 v42, v43 offset:4004
	v_lshrrev_b32_e32 v71, 16, v70
	s_waitcnt vmcnt(4)
	v_mul_f16_sdwa v75, v36, v63 dst_sel:DWORD dst_unused:UNUSED_PAD src0_sel:DWORD src1_sel:WORD_1
	v_pack_b32_f16 v40, v35, v69
	v_add_nc_u32_e32 v35, 0x900, v43
	v_lshrrev_b32_e32 v69, 16, v36
	s_waitcnt vmcnt(1)
	v_mul_f16_sdwa v76, v71, v67 dst_sel:DWORD dst_unused:UNUSED_PAD src0_sel:DWORD src1_sel:WORD_1
	v_mul_f16_sdwa v77, v70, v67 dst_sel:DWORD dst_unused:UNUSED_PAD src0_sel:DWORD src1_sel:WORD_1
	ds_write_b32 v43, v40
	ds_read2_b32 v[40:41], v35 offset0:61 offset1:243
	v_mul_f16_sdwa v74, v69, v63 dst_sel:DWORD dst_unused:UNUSED_PAD src0_sel:DWORD src1_sel:WORD_1
	v_fmac_f16_e32 v75, v69, v63
	v_fmac_f16_e32 v77, v71, v67
	v_fma_f16 v36, v36, v63, -v74
	v_fma_f16 v63, v70, v67, -v76
	s_waitcnt lgkmcnt(2)
	v_lshrrev_b32_e32 v73, 16, v42
	v_mul_f16_sdwa v79, v42, v66 dst_sel:DWORD dst_unused:UNUSED_PAD src0_sel:DWORD src1_sel:WORD_1
	v_pack_b32_f16 v36, v36, v75
	v_pack_b32_f16 v63, v63, v77
	v_mul_f16_sdwa v78, v73, v66 dst_sel:DWORD dst_unused:UNUSED_PAD src0_sel:DWORD src1_sel:WORD_1
	v_fmac_f16_e32 v79, v73, v66
	s_waitcnt lgkmcnt(0)
	v_lshrrev_b32_e32 v69, 16, v40
	v_lshrrev_b32_e32 v70, 16, v41
	s_waitcnt vmcnt(0)
	v_mul_f16_sdwa v67, v40, v68 dst_sel:DWORD dst_unused:UNUSED_PAD src0_sel:DWORD src1_sel:WORD_1
	v_mul_f16_sdwa v71, v41, v65 dst_sel:DWORD dst_unused:UNUSED_PAD src0_sel:DWORD src1_sel:WORD_1
	v_fma_f16 v42, v42, v66, -v78
	v_mul_f16_sdwa v74, v69, v68 dst_sel:DWORD dst_unused:UNUSED_PAD src0_sel:DWORD src1_sel:WORD_1
	v_mul_f16_sdwa v76, v70, v65 dst_sel:DWORD dst_unused:UNUSED_PAD src0_sel:DWORD src1_sel:WORD_1
	v_fmac_f16_e32 v67, v69, v68
	v_fmac_f16_e32 v71, v70, v65
	v_pack_b32_f16 v42, v42, v79
	v_fma_f16 v40, v40, v68, -v74
	v_fma_f16 v41, v41, v65, -v76
	v_pack_b32_f16 v40, v40, v67
	v_pack_b32_f16 v41, v41, v71
	ds_write2_b32 v72, v36, v63 offset0:54 offset1:236
	ds_write2_b32 v35, v40, v41 offset0:61 offset1:243
	ds_write_b32 v43, v42 offset:4004
	s_and_saveexec_b32 s2, vcc_lo
	s_cbranch_execz .LBB0_13
; %bb.12:
	v_add_co_u32 v40, s1, 0x800, v33
	v_add_co_ci_u32_e64 v41, s1, 0, v34, s1
	v_add_co_u32 v33, s1, 0x1000, v33
	v_add_co_ci_u32_e64 v34, s1, 0, v34, s1
	s_clause 0x1
	global_load_dword v36, v[40:41], off offset:136
	global_load_dword v33, v[33:34], off offset:636
	ds_read_b32 v34, v43 offset:2184
	ds_read_b32 v40, v43 offset:4732
	s_waitcnt lgkmcnt(1)
	v_lshrrev_b32_e32 v41, 16, v34
	s_waitcnt lgkmcnt(0)
	v_lshrrev_b32_e32 v42, 16, v40
	s_waitcnt vmcnt(1)
	v_mul_f16_sdwa v63, v41, v36 dst_sel:DWORD dst_unused:UNUSED_PAD src0_sel:DWORD src1_sel:WORD_1
	v_mul_f16_sdwa v65, v34, v36 dst_sel:DWORD dst_unused:UNUSED_PAD src0_sel:DWORD src1_sel:WORD_1
	s_waitcnt vmcnt(0)
	v_mul_f16_sdwa v66, v42, v33 dst_sel:DWORD dst_unused:UNUSED_PAD src0_sel:DWORD src1_sel:WORD_1
	v_mul_f16_sdwa v67, v40, v33 dst_sel:DWORD dst_unused:UNUSED_PAD src0_sel:DWORD src1_sel:WORD_1
	v_fma_f16 v34, v34, v36, -v63
	v_fmac_f16_e32 v65, v41, v36
	v_fma_f16 v36, v40, v33, -v66
	v_fmac_f16_e32 v67, v42, v33
	v_pack_b32_f16 v33, v34, v65
	v_pack_b32_f16 v34, v36, v67
	ds_write_b32 v43, v33 offset:2184
	ds_write_b32 v43, v34 offset:4732
.LBB0_13:
	s_or_b32 exec_lo, exec_lo, s2
	s_waitcnt lgkmcnt(0)
	s_barrier
	buffer_gl0_inv
	ds_read2_b32 v[41:42], v43 offset1:182
	ds_read2_b32 v[34:35], v35 offset0:61 offset1:243
	ds_read_b32 v67, v43 offset:1456
	ds_read_b32 v33, v43 offset:4004
	v_add_nc_u32_e32 v66, 0x5b0, v37
	v_add_nc_u32_e32 v65, 0xb60, v37
	s_and_saveexec_b32 s1, vcc_lo
	s_cbranch_execz .LBB0_15
; %bb.14:
	ds_read_b32 v62, v43 offset:2184
	ds_read_b32 v38, v43 offset:4732
	s_waitcnt lgkmcnt(1)
	v_lshrrev_b32_e32 v64, 16, v62
	s_waitcnt lgkmcnt(0)
	v_lshrrev_b32_e32 v39, 16, v38
.LBB0_15:
	s_or_b32 exec_lo, exec_lo, s1
	v_sub_f16_e32 v36, v62, v38
	v_sub_f16_e32 v63, v64, v39
	s_waitcnt lgkmcnt(2)
	v_pk_add_f16 v34, v41, v34 neg_lo:[0,1] neg_hi:[0,1]
	v_pk_add_f16 v40, v42, v35 neg_lo:[0,1] neg_hi:[0,1]
	s_waitcnt lgkmcnt(0)
	v_pk_add_f16 v38, v67, v33 neg_lo:[0,1] neg_hi:[0,1]
	v_fma_f16 v35, v62, 2.0, -v36
	v_fma_f16 v62, v64, 2.0, -v63
	v_pk_fma_f16 v33, v41, 2.0, v34 op_sel_hi:[1,0,1] neg_lo:[0,0,1] neg_hi:[0,0,1]
	v_pk_fma_f16 v39, v42, 2.0, v40 op_sel_hi:[1,0,1] neg_lo:[0,0,1] neg_hi:[0,0,1]
	;; [unrolled: 1-line block ×3, first 2 shown]
	s_barrier
	buffer_gl0_inv
	ds_write_b64 v54, v[33:34]
	ds_write_b64 v66, v[39:40]
	;; [unrolled: 1-line block ×3, first 2 shown]
	s_and_saveexec_b32 s1, vcc_lo
	s_cbranch_execz .LBB0_17
; %bb.16:
	v_perm_b32 v42, v63, v36, 0x5040100
	v_perm_b32 v41, v62, v35, 0x5040100
	ds_write_b64 v53, v[41:42]
.LBB0_17:
	s_or_b32 exec_lo, exec_lo, s1
	v_lshrrev_b32_e32 v65, 16, v39
	v_lshrrev_b32_e32 v64, 16, v37
	;; [unrolled: 1-line block ×3, first 2 shown]
	s_waitcnt lgkmcnt(0)
	s_barrier
	buffer_gl0_inv
	s_and_saveexec_b32 s1, s0
	s_cbranch_execz .LBB0_19
; %bb.18:
	v_add_nc_u32_e32 v29, 0x200, v43
	v_add_nc_u32_e32 v31, 0x800, v43
	;; [unrolled: 1-line block ×5, first 2 shown]
	ds_read2_b32 v[33:34], v43 offset1:98
	ds_read2_b32 v[39:40], v29 offset0:68 offset1:166
	ds_read2_b32 v[37:38], v30 offset0:136 offset1:234
	;; [unrolled: 1-line block ×5, first 2 shown]
	ds_read_b32 v60, v43 offset:4704
	s_waitcnt lgkmcnt(3)
	v_lshrrev_b32_e32 v62, 16, v35
	v_lshrrev_b32_e32 v41, 16, v33
	;; [unrolled: 1-line block ×5, first 2 shown]
	s_waitcnt lgkmcnt(2)
	v_lshrrev_b32_e32 v56, 16, v29
	v_lshrrev_b32_e32 v57, 16, v30
	s_waitcnt lgkmcnt(1)
	v_lshrrev_b32_e32 v58, 16, v31
	v_lshrrev_b32_e32 v59, 16, v32
	s_waitcnt lgkmcnt(0)
	v_lshrrev_b32_e32 v61, 16, v60
.LBB0_19:
	s_or_b32 exec_lo, exec_lo, s1
	s_barrier
	buffer_gl0_inv
	s_and_saveexec_b32 s1, s0
	s_cbranch_execz .LBB0_21
; %bb.20:
	v_lshrrev_b32_e32 v66, 16, v34
	v_mul_f16_sdwa v42, v11, v61 dst_sel:DWORD dst_unused:UNUSED_PAD src0_sel:WORD_1 src1_sel:DWORD
	v_mul_f16_sdwa v67, v11, v60 dst_sel:DWORD dst_unused:UNUSED_PAD src0_sel:WORD_1 src1_sel:DWORD
	;; [unrolled: 1-line block ×6, first 2 shown]
	v_fmac_f16_e32 v42, v11, v60
	v_lshrrev_b32_e32 v60, 16, v40
	v_mul_f16_sdwa v71, v10, v32 dst_sel:DWORD dst_unused:UNUSED_PAD src0_sel:WORD_1 src1_sel:DWORD
	v_fmac_f16_e32 v70, v4, v34
	v_mul_f16_sdwa v72, v5, v39 dst_sel:DWORD dst_unused:UNUSED_PAD src0_sel:WORD_1 src1_sel:DWORD
	v_fma_f16 v34, v11, v61, -v67
	v_fma_f16 v61, v4, v66, -v68
	v_fmac_f16_e32 v69, v5, v39
	v_sub_f16_e32 v11, v70, v42
	v_fmac_f16_e32 v53, v10, v32
	v_mul_f16_sdwa v66, v6, v60 dst_sel:DWORD dst_unused:UNUSED_PAD src0_sel:WORD_1 src1_sel:DWORD
	v_mul_f16_sdwa v54, v9, v58 dst_sel:DWORD dst_unused:UNUSED_PAD src0_sel:WORD_1 src1_sel:DWORD
	v_add_f16_e32 v67, v34, v61
	v_mul_f16_e32 v68, 0xb3a8, v11
	v_fma_f16 v32, v10, v59, -v71
	v_fma_f16 v59, v5, v65, -v72
	v_sub_f16_e32 v4, v69, v53
	v_fmac_f16_e32 v66, v6, v40
	v_mul_f16_sdwa v40, v6, v40 dst_sel:DWORD dst_unused:UNUSED_PAD src0_sel:WORD_1 src1_sel:DWORD
	v_fmamk_f16 v10, v67, 0xbbc4, v68
	v_fmac_f16_e32 v54, v9, v31
	v_mul_f16_sdwa v31, v9, v31 dst_sel:DWORD dst_unused:UNUSED_PAD src0_sel:WORD_1 src1_sel:DWORD
	v_mul_f16_e32 v65, 0x3770, v4
	v_add_f16_e32 v71, v32, v59
	v_fma_f16 v40, v6, v60, -v40
	v_mul_f16_sdwa v60, v7, v64 dst_sel:DWORD dst_unused:UNUSED_PAD src0_sel:WORD_1 src1_sel:DWORD
	v_mul_f16_sdwa v72, v8, v57 dst_sel:DWORD dst_unused:UNUSED_PAD src0_sel:WORD_1 src1_sel:DWORD
	v_lshrrev_b32_e32 v73, 16, v38
	v_sub_f16_e32 v5, v66, v54
	v_fma_f16 v39, v9, v58, -v31
	v_add_f16_e32 v6, v41, v10
	v_fmamk_f16 v9, v71, 0x3b15, v65
	v_fmac_f16_e32 v60, v7, v37
	v_fmac_f16_e32 v72, v8, v30
	v_mul_f16_sdwa v30, v8, v30 dst_sel:DWORD dst_unused:UNUSED_PAD src0_sel:WORD_1 src1_sel:DWORD
	v_mul_f16_sdwa v37, v7, v37 dst_sel:DWORD dst_unused:UNUSED_PAD src0_sel:WORD_1 src1_sel:DWORD
	;; [unrolled: 1-line block ×4, first 2 shown]
	v_mul_f16_e32 v31, 0xb94e, v5
	v_add_f16_e32 v58, v39, v40
	v_add_f16_e32 v9, v9, v6
	v_sub_f16_e32 v6, v60, v72
	v_fma_f16 v57, v8, v57, -v30
	v_fma_f16 v37, v7, v64, -v37
	v_fmac_f16_e32 v74, v0, v38
	v_fmac_f16_e32 v75, v3, v29
	v_mul_f16_sdwa v8, v3, v29 dst_sel:DWORD dst_unused:UNUSED_PAD src0_sel:WORD_1 src1_sel:DWORD
	v_mul_f16_sdwa v29, v0, v38 dst_sel:DWORD dst_unused:UNUSED_PAD src0_sel:WORD_1 src1_sel:DWORD
	v_fmamk_f16 v10, v58, 0xb9fd, v31
	v_mul_f16_e32 v30, 0x3a95, v6
	v_add_f16_e32 v38, v57, v37
	v_sub_f16_e32 v7, v74, v75
	v_fma_f16 v56, v3, v56, -v8
	v_fma_f16 v64, v0, v73, -v29
	v_add_f16_e32 v0, v10, v9
	v_fmamk_f16 v3, v38, 0x388b, v30
	v_mul_f16_e32 v73, 0xbb7b, v7
	v_sub_f16_e32 v79, v61, v34
	v_add_f16_e32 v76, v56, v64
	v_mul_f16_sdwa v77, v1, v62 dst_sel:DWORD dst_unused:UNUSED_PAD src0_sel:WORD_1 src1_sel:DWORD
	v_add_f16_e32 v0, v3, v0
	v_mul_f16_sdwa v78, v2, v63 dst_sel:DWORD dst_unused:UNUSED_PAD src0_sel:WORD_1 src1_sel:DWORD
	v_mul_f16_e32 v80, 0xb3a8, v79
	v_fmamk_f16 v3, v76, 0xb5ac, v73
	v_sub_f16_e32 v81, v59, v32
	v_fmac_f16_e32 v77, v1, v35
	v_fmac_f16_e32 v78, v2, v36
	v_mul_f16_sdwa v9, v2, v36 dst_sel:DWORD dst_unused:UNUSED_PAD src0_sel:WORD_1 src1_sel:DWORD
	v_add_f16_e32 v29, v3, v0
	v_add_f16_e32 v3, v42, v70
	v_mul_f16_sdwa v10, v1, v35 dst_sel:DWORD dst_unused:UNUSED_PAD src0_sel:WORD_1 src1_sel:DWORD
	v_add_f16_e32 v8, v53, v69
	v_mul_f16_e32 v36, 0x3770, v81
	v_sub_f16_e32 v82, v40, v39
	v_fma_f16 v35, v3, 0xbbc4, -v80
	v_sub_f16_e32 v0, v77, v78
	v_fma_f16 v63, v2, v63, -v9
	v_fma_f16 v62, v1, v62, -v10
	;; [unrolled: 1-line block ×3, first 2 shown]
	v_add_f16_e32 v1, v33, v35
	v_add_f16_e32 v2, v54, v66
	v_mul_f16_e32 v35, 0xb94e, v82
	v_sub_f16_e32 v84, v37, v57
	v_mul_f16_e32 v83, 0x3bf1, v0
	v_add_f16_e32 v85, v63, v62
	v_add_f16_e32 v1, v9, v1
	v_fma_f16 v10, v2, 0xb9fd, -v35
	v_add_f16_e32 v9, v72, v60
	v_mul_f16_e32 v86, 0x3a95, v84
	v_fmamk_f16 v87, v85, 0x2fb7, v83
	v_sub_f16_e32 v88, v64, v56
	v_add_f16_e32 v89, v10, v1
	v_fma_f16 v68, v67, 0xbbc4, -v68
	v_fma_f16 v90, v9, 0x388b, -v86
	v_add_f16_e32 v10, v75, v74
	v_mul_f16_e32 v91, 0xbb7b, v88
	v_add_f16_e32 v1, v87, v29
	v_add_f16_e32 v29, v41, v68
	v_fma_f16 v65, v71, 0x3b15, -v65
	v_add_f16_e32 v68, v90, v89
	v_sub_f16_e32 v89, v62, v63
	v_fmac_f16_e32 v80, 0xbbc4, v3
	v_fma_f16 v87, v10, 0xb5ac, -v91
	v_add_f16_e32 v65, v65, v29
	v_fma_f16 v31, v58, 0xb9fd, -v31
	v_add_f16_e32 v29, v78, v77
	v_mul_f16_e32 v90, 0x3bf1, v89
	v_add_f16_e32 v80, v33, v80
	v_fmac_f16_e32 v36, 0x3b15, v8
	v_add_f16_e32 v31, v31, v65
	v_fma_f16 v30, v38, 0x388b, -v30
	v_add_f16_e32 v65, v87, v68
	v_fma_f16 v68, v29, 0x2fb7, -v90
	v_add_f16_e32 v36, v36, v80
	v_fmac_f16_e32 v35, 0xb9fd, v2
	v_mul_f16_e32 v80, 0xb9fd, v67
	v_add_f16_e32 v31, v30, v31
	v_fma_f16 v73, v76, 0xb5ac, -v73
	v_add_f16_e32 v30, v68, v65
	v_add_f16_e32 v35, v35, v36
	v_fmamk_f16 v36, v11, 0x394e, v80
	v_mul_f16_e32 v65, 0x2fb7, v71
	v_fmac_f16_e32 v86, 0x388b, v9
	v_add_f16_e32 v31, v73, v31
	v_fma_f16 v68, v85, 0x2fb7, -v83
	v_add_f16_e32 v36, v41, v36
	v_fmamk_f16 v73, v4, 0xbbf1, v65
	v_mul_f16_e32 v83, 0x388b, v58
	v_add_f16_e32 v35, v86, v35
	v_mul_f16_e32 v86, 0xbbc4, v38
	v_fmac_f16_e32 v91, 0xb5ac, v10
	v_add_f16_e32 v36, v73, v36
	v_fmamk_f16 v73, v5, 0x3a95, v83
	v_add_f16_e32 v31, v68, v31
	v_mul_f16_e32 v68, 0xb94e, v79
	v_mul_f16_e32 v92, 0x3b15, v76
	v_add_f16_e32 v35, v91, v35
	v_add_f16_e32 v36, v73, v36
	v_fmamk_f16 v73, v6, 0xb3a8, v86
	v_fmamk_f16 v87, v3, 0xb9fd, v68
	v_mul_f16_e32 v91, 0x3bf1, v81
	v_fmac_f16_e32 v90, 0x2fb7, v29
	v_mul_f16_e32 v94, 0xba95, v82
	v_add_f16_e32 v36, v73, v36
	v_fmamk_f16 v73, v7, 0xb770, v92
	v_add_f16_e32 v87, v33, v87
	v_fmamk_f16 v93, v8, 0x2fb7, v91
	v_mul_f16_e32 v95, 0xb5ac, v67
	v_add_f16_e32 v35, v90, v35
	v_add_f16_e32 v36, v73, v36
	v_mul_f16_e32 v73, 0xb5ac, v85
	v_add_f16_e32 v87, v93, v87
	v_fmamk_f16 v90, v2, 0x388b, v94
	v_mul_f16_e32 v93, 0x33a8, v84
	v_fmamk_f16 v98, v11, 0x3b7b, v95
	v_fmamk_f16 v97, v0, 0x3b7b, v73
	v_mul_f16_e32 v99, 0xb9fd, v71
	v_add_f16_e32 v87, v90, v87
	v_fmamk_f16 v90, v9, 0xbbc4, v93
	v_mul_f16_e32 v96, 0x3770, v88
	v_add_f16_e32 v36, v97, v36
	v_add_f16_e32 v97, v41, v98
	v_fmamk_f16 v98, v4, 0xb94e, v99
	v_mul_f16_e32 v100, 0x3b15, v58
	v_add_f16_e32 v87, v90, v87
	v_fmamk_f16 v90, v10, 0x3b15, v96
	v_mul_f16_e32 v101, 0xbb7b, v79
	;; [unrolled: 3-line block ×3, first 2 shown]
	v_add_f16_e32 v87, v90, v87
	v_mul_f16_e32 v90, 0xbb7b, v89
	v_fmamk_f16 v104, v3, 0xb5ac, v101
	v_mul_f16_e32 v105, 0x394e, v81
	v_add_f16_e32 v97, v98, v97
	v_fmamk_f16 v98, v6, 0x3bf1, v102
	v_mul_f16_e32 v106, 0xbbc4, v76
	v_fmamk_f16 v103, v29, 0xb5ac, v90
	v_add_f16_e32 v104, v33, v104
	v_fmamk_f16 v107, v8, 0xb9fd, v105
	v_mul_f16_e32 v108, 0x3770, v82
	v_add_f16_e32 v97, v98, v97
	v_fmamk_f16 v98, v7, 0xb3a8, v106
	v_add_f16_e32 v87, v103, v87
	v_add_f16_e32 v103, v107, v104
	v_fmamk_f16 v104, v2, 0x3b15, v108
	v_mul_f16_e32 v107, 0xbbf1, v84
	v_add_f16_e32 v97, v98, v97
	v_mul_f16_e32 v98, 0x388b, v85
	v_mul_f16_e32 v109, 0x2fb7, v67
	v_add_f16_e32 v103, v104, v103
	v_fmamk_f16 v104, v9, 0x2fb7, v107
	v_mul_f16_e32 v110, 0x33a8, v88
	v_fmamk_f16 v111, v0, 0xba95, v98
	v_fmamk_f16 v112, v11, 0x3bf1, v109
	v_mul_f16_e32 v113, 0xbbc4, v71
	v_add_f16_e32 v103, v104, v103
	v_fmamk_f16 v104, v10, 0xbbc4, v110
	v_add_f16_e32 v97, v111, v97
	v_add_f16_e32 v111, v41, v112
	v_fmamk_f16 v112, v4, 0x33a8, v113
	v_mul_f16_e32 v114, 0xb5ac, v58
	v_mul_f16_e32 v115, 0xbbf1, v79
	v_add_f16_e32 v103, v104, v103
	v_mul_f16_e32 v104, 0x3a95, v89
	v_add_f16_e32 v111, v112, v111
	v_fmamk_f16 v112, v5, 0xbb7b, v114
	v_mul_f16_e32 v116, 0x3b15, v38
	v_fmamk_f16 v118, v3, 0x2fb7, v115
	v_mul_f16_e32 v119, 0xb3a8, v81
	v_fmamk_f16 v117, v29, 0x388b, v104
	v_add_f16_e32 v111, v112, v111
	v_fmamk_f16 v112, v6, 0xb770, v116
	v_mul_f16_e32 v120, 0x388b, v76
	v_add_f16_e32 v118, v33, v118
	v_fmamk_f16 v121, v8, 0xbbc4, v119
	v_mul_f16_e32 v122, 0x3b7b, v82
	v_add_f16_e32 v111, v112, v111
	v_fmamk_f16 v112, v7, 0x3a95, v120
	v_add_f16_e32 v103, v117, v103
	v_add_f16_e32 v117, v121, v118
	v_fmamk_f16 v118, v2, 0xb5ac, v122
	v_mul_f16_e32 v121, 0x3770, v84
	v_add_f16_e32 v111, v112, v111
	v_mul_f16_e32 v112, 0x388b, v67
	v_mul_f16_e32 v124, 0xba95, v88
	v_add_f16_e32 v117, v118, v117
	v_fmamk_f16 v118, v9, 0x3b15, v121
	v_mul_f16_e32 v123, 0xb9fd, v85
	v_fmamk_f16 v125, v11, 0x3a95, v112
	v_mul_f16_e32 v126, 0xb5ac, v71
	v_mul_f16_e32 v129, 0xbbc4, v58
	v_add_f16_e32 v117, v118, v117
	v_fmamk_f16 v118, v10, 0x388b, v124
	v_fmamk_f16 v127, v0, 0x394e, v123
	v_add_f16_e32 v125, v41, v125
	v_fmamk_f16 v128, v4, 0x3b7b, v126
	v_mul_f16_e32 v132, 0xbb7b, v81
	v_add_f16_e32 v117, v118, v117
	v_mul_f16_e32 v118, 0xba95, v79
	v_add_f16_e32 v111, v127, v111
	v_add_f16_e32 v125, v128, v125
	v_fmamk_f16 v127, v5, 0x33a8, v129
	v_mul_f16_e32 v128, 0xb9fd, v38
	v_fmamk_f16 v131, v3, 0x388b, v118
	v_mul_f16_e32 v133, 0x2fb7, v76
	v_fmamk_f16 v134, v8, 0xb5ac, v132
	v_add_f16_e32 v125, v127, v125
	v_fmamk_f16 v127, v6, 0xb94e, v128
	v_add_f16_e32 v131, v33, v131
	v_mul_f16_e32 v135, 0xb3a8, v82
	v_mul_f16_e32 v137, 0x394e, v84
	;; [unrolled: 1-line block ×3, first 2 shown]
	v_add_f16_e32 v125, v127, v125
	v_fmamk_f16 v127, v7, 0xbbf1, v133
	v_add_f16_e32 v131, v134, v131
	v_fmamk_f16 v134, v2, 0xbbc4, v135
	v_fmamk_f16 v138, v11, 0x3770, v67
	v_mul_f16_e32 v71, 0x388b, v71
	v_add_f16_e32 v125, v127, v125
	v_mul_f16_e32 v139, 0x3770, v89
	v_add_f16_e32 v127, v134, v131
	v_fmamk_f16 v131, v9, 0xb9fd, v137
	v_mul_f16_e32 v134, 0x3bf1, v88
	v_add_f16_e32 v138, v41, v138
	v_fmamk_f16 v140, v4, 0x3a95, v71
	;; [unrolled: 3-line block ×3, first 2 shown]
	v_add_f16_e32 v70, v33, v70
	v_add_f16_e32 v138, v140, v138
	v_fmamk_f16 v140, v5, 0x3bf1, v58
	v_mul_f16_e32 v38, 0xb5ac, v38
	v_add_f16_e32 v127, v131, v127
	v_fmamk_f16 v131, v29, 0x3b15, v139
	v_add_f16_e32 v69, v69, v70
	v_add_f16_e32 v61, v61, v41
	v_mul_f16_e32 v76, 0xb9fd, v76
	v_mul_f16_e32 v79, 0xb770, v79
	v_add_f16_e32 v127, v131, v127
	v_add_f16_e32 v131, v140, v138
	v_fmamk_f16 v138, v6, 0x3b7b, v38
	v_add_f16_e32 v66, v66, v69
	v_add_f16_e32 v59, v59, v61
	v_mul_f16_e32 v61, 0xba95, v81
	v_fmac_f16_e32 v80, 0xb94e, v11
	v_add_f16_e32 v70, v138, v131
	v_fmamk_f16 v131, v7, 0x394e, v76
	v_fmamk_f16 v138, v3, 0x3b15, v79
	v_add_f16_e32 v60, v60, v66
	v_add_f16_e32 v40, v40, v59
	v_fmamk_f16 v59, v8, 0x388b, v61
	v_add_f16_e32 v69, v131, v70
	v_add_f16_e32 v70, v33, v138
	v_mul_f16_e32 v66, 0xbbf1, v82
	v_add_f16_e32 v60, v74, v60
	v_add_f16_e32 v37, v37, v40
	v_fmac_f16_e32 v65, 0x3bf1, v4
	v_add_f16_e32 v40, v59, v70
	v_fmamk_f16 v59, v2, 0x2fb7, v66
	v_mul_f16_e32 v70, 0xbb7b, v84
	v_add_f16_e32 v60, v77, v60
	v_add_f16_e32 v37, v64, v37
	v_fmac_f16_e32 v83, 0xba95, v5
	v_add_f16_e32 v40, v59, v40
	v_fmamk_f16 v59, v9, 0xb5ac, v70
	v_add_f16_e32 v60, v78, v60
	v_add_f16_e32 v37, v62, v37
	v_fmac_f16_e32 v86, 0x33a8, v6
	v_fmac_f16_e32 v92, 0x3770, v7
	v_add_f16_e32 v40, v59, v40
	v_add_f16_e32 v59, v75, v60
	;; [unrolled: 1-line block ×3, first 2 shown]
	v_fmac_f16_e32 v95, 0xbb7b, v11
	v_fmac_f16_e32 v99, 0x394e, v4
	;; [unrolled: 1-line block ×3, first 2 shown]
	v_add_f16_e32 v59, v72, v59
	v_add_f16_e32 v37, v56, v37
	;; [unrolled: 1-line block ×3, first 2 shown]
	v_mul_f16_e32 v81, 0xbbc4, v85
	v_fmac_f16_e32 v102, 0xbbf1, v6
	v_add_f16_e32 v54, v54, v59
	v_add_f16_e32 v37, v57, v37
	;; [unrolled: 1-line block ×3, first 2 shown]
	v_fma_f16 v57, v3, 0xb9fd, -v68
	v_fmac_f16_e32 v109, 0xbbf1, v11
	v_add_f16_e32 v53, v53, v54
	v_add_f16_e32 v37, v39, v37
	;; [unrolled: 1-line block ×4, first 2 shown]
	v_fma_f16 v56, v8, 0x2fb7, -v91
	v_add_f16_e32 v42, v42, v53
	v_add_f16_e32 v32, v32, v37
	;; [unrolled: 1-line block ×3, first 2 shown]
	v_fma_f16 v53, v2, 0x388b, -v94
	v_add_f16_e32 v39, v56, v54
	v_fma_f16 v54, v3, 0xb5ac, -v101
	v_add_f16_e32 v32, v34, v32
	v_add_f16_e32 v34, v92, v37
	v_fma_f16 v56, v8, 0xb9fd, -v105
	v_add_f16_e32 v37, v53, v39
	v_fma_f16 v39, v9, 0xbbc4, -v93
	v_add_f16_e32 v53, v41, v95
	v_add_f16_e32 v54, v33, v54
	v_fmamk_f16 v64, v0, 0x33a8, v81
	v_fmac_f16_e32 v113, 0xb3a8, v4
	v_add_f16_e32 v37, v39, v37
	v_fma_f16 v39, v10, 0x3b15, -v96
	v_add_f16_e32 v53, v99, v53
	v_add_f16_e32 v54, v56, v54
	v_fma_f16 v56, v2, 0x3b15, -v108
	v_add_f16_e32 v62, v64, v69
	;; [unrolled: 3-line block ×3, first 2 shown]
	v_mul_f16_e32 v64, 0xb94e, v88
	v_fmac_f16_e32 v114, 0x3b7b, v5
	v_fma_f16 v57, v3, 0x2fb7, -v115
	v_add_f16_e32 v37, v39, v37
	v_add_f16_e32 v39, v102, v53
	;; [unrolled: 1-line block ×3, first 2 shown]
	v_fma_f16 v54, v9, 0x2fb7, -v107
	v_add_f16_e32 v56, v41, v109
	v_fmamk_f16 v60, v10, 0xb9fd, v64
	v_mul_f16_e32 v63, 0xb3a8, v89
	v_fmac_f16_e32 v116, 0x3770, v6
	v_add_f16_e32 v53, v54, v53
	v_fma_f16 v54, v10, 0xbbc4, -v110
	v_add_f16_e32 v56, v113, v56
	v_add_f16_e32 v57, v33, v57
	v_fma_f16 v59, v8, 0xbbc4, -v119
	v_add_f16_e32 v40, v60, v40
	;; [unrolled: 3-line block ×3, first 2 shown]
	v_fmamk_f16 v60, v29, 0xbbc4, v63
	v_mul_f16_e32 v130, 0xb94e, v89
	v_fmac_f16_e32 v112, 0xba95, v11
	v_add_f16_e32 v53, v54, v53
	v_add_f16_e32 v54, v116, v56
	;; [unrolled: 1-line block ×3, first 2 shown]
	v_fma_f16 v57, v2, 0xb5ac, -v122
	v_add_f16_e32 v40, v60, v40
	v_fma_f16 v60, v3, 0x388b, -v118
	v_fma_f16 v65, v8, 0xb5ac, -v132
	v_fmac_f16_e32 v67, 0xb770, v11
	v_add_f16_e32 v56, v57, v56
	v_fma_f16 v57, v9, 0x3b15, -v121
	v_add_f16_e32 v60, v33, v60
	v_fma_f16 v3, v3, 0x3b15, -v79
	v_add_f16_e32 v59, v41, v112
	v_add_f16_e32 v41, v41, v67
	;; [unrolled: 1-line block ×3, first 2 shown]
	v_fma_f16 v57, v10, 0x388b, -v124
	v_add_f16_e32 v60, v65, v60
	v_fma_f16 v65, v2, 0xbbc4, -v135
	v_fmac_f16_e32 v71, 0xba95, v4
	v_fmac_f16_e32 v126, 0xbb7b, v4
	v_add_f16_e32 v56, v57, v56
	v_fma_f16 v57, v29, 0xb9fd, -v130
	v_add_f16_e32 v3, v33, v3
	v_fma_f16 v8, v8, 0x388b, -v61
	v_fma_f16 v4, v9, 0xb9fd, -v137
	v_add_f16_e32 v33, v71, v41
	v_add_f16_e32 v11, v57, v56
	;; [unrolled: 1-line block ×3, first 2 shown]
	v_fmac_f16_e32 v58, 0xbbf1, v5
	v_fmamk_f16 v136, v29, 0xb9fd, v130
	v_add_f16_e32 v59, v126, v59
	v_fmac_f16_e32 v129, 0xb3a8, v5
	v_add_f16_e32 v3, v8, v3
	v_fma_f16 v2, v2, 0x2fb7, -v66
	v_add_f16_e32 v4, v4, v57
	v_fma_f16 v5, v10, 0x2fb7, -v134
	v_add_f16_e32 v8, v58, v33
	v_fmac_f16_e32 v38, 0xbb7b, v6
	v_add_f16_e32 v117, v136, v117
	v_mul_f16_e32 v136, 0x3b15, v85
	v_add_f16_e32 v59, v129, v59
	v_fmac_f16_e32 v128, 0x394e, v6
	v_add_f16_e32 v2, v2, v3
	v_fma_f16 v3, v9, 0xb5ac, -v70
	v_add_f16_e32 v4, v5, v4
	v_add_f16_e32 v5, v38, v8
	v_mul_u32_u24_e32 v8, 26, v52
	v_fmamk_f16 v141, v0, 0xb770, v136
	v_fmac_f16_e32 v106, 0x33a8, v7
	v_fmac_f16_e32 v120, 0xba95, v7
	v_add_f16_e32 v59, v128, v59
	v_fmac_f16_e32 v133, 0x3bf1, v7
	v_fmac_f16_e32 v76, 0xb94e, v7
	v_add_f16_e32 v2, v3, v2
	v_fma_f16 v3, v10, 0xb9fd, -v64
	v_or_b32_e32 v8, v8, v51
	v_add_f16_e32 v125, v141, v125
	v_fmac_f16_e32 v73, 0xbb7b, v0
	v_add_f16_e32 v39, v106, v39
	v_fmac_f16_e32 v98, 0x3a95, v0
	;; [unrolled: 2-line block ×4, first 2 shown]
	v_fma_f16 v7, v29, 0x3b15, -v139
	v_add_f16_e32 v5, v76, v5
	v_fmac_f16_e32 v81, 0xb3a8, v0
	v_add_f16_e32 v0, v3, v2
	v_fma_f16 v2, v29, 0xbbc4, -v63
	v_lshlrev_b32_e32 v3, 2, v8
	v_pack_b32_f16 v8, v42, v32
	v_pack_b32_f16 v9, v40, v62
	v_add_f16_e32 v34, v73, v34
	v_add_f16_e32 v39, v98, v39
	v_pack_b32_f16 v10, v127, v125
	v_pack_b32_f16 v29, v117, v111
	v_add_f16_e32 v54, v123, v54
	v_add_f16_e32 v6, v136, v56
	;; [unrolled: 1-line block ×5, first 2 shown]
	v_pack_b32_f16 v2, v103, v97
	v_pack_b32_f16 v7, v87, v36
	ds_write2_b32 v3, v8, v9 offset1:2
	ds_write2_b32 v3, v10, v29 offset0:4 offset1:6
	v_pack_b32_f16 v8, v35, v31
	v_pack_b32_f16 v1, v30, v1
	;; [unrolled: 1-line block ×7, first 2 shown]
	ds_write2_b32 v3, v2, v7 offset0:8 offset1:10
	ds_write2_b32 v3, v8, v1 offset0:12 offset1:14
	;; [unrolled: 1-line block ×4, first 2 shown]
	ds_write_b32 v3, v0 offset:96
.LBB0_21:
	s_or_b32 exec_lo, exec_lo, s1
	s_waitcnt lgkmcnt(0)
	s_barrier
	buffer_gl0_inv
	ds_read2_b32 v[0:1], v43 offset1:182
	v_add_nc_u32_e32 v6, 0x500, v43
	v_add_nc_u32_e32 v7, 0xb00, v43
	ds_read_b32 v8, v43 offset:4368
	ds_read2_b32 v[2:3], v6 offset0:44 offset1:226
	ds_read2_b32 v[4:5], v7 offset0:24 offset1:206
	s_waitcnt lgkmcnt(0)
	s_barrier
	buffer_gl0_inv
	s_mov_b32 s4, 0xf5262dd1
	s_mov_b32 s5, 0x3f49b876
	v_lshrrev_b32_e32 v9, 16, v1
	v_mul_f16_sdwa v11, v12, v1 dst_sel:DWORD dst_unused:UNUSED_PAD src0_sel:WORD_1 src1_sel:DWORD
	v_lshrrev_b32_e32 v10, 16, v8
	v_mul_f16_sdwa v29, v26, v8 dst_sel:DWORD dst_unused:UNUSED_PAD src0_sel:WORD_1 src1_sel:DWORD
	v_lshrrev_b32_e32 v30, 16, v2
	v_lshrrev_b32_e32 v31, 16, v3
	;; [unrolled: 1-line block ×3, first 2 shown]
	v_mul_f16_sdwa v34, v12, v9 dst_sel:DWORD dst_unused:UNUSED_PAD src0_sel:WORD_1 src1_sel:DWORD
	v_mul_f16_sdwa v35, v14, v3 dst_sel:DWORD dst_unused:UNUSED_PAD src0_sel:WORD_1 src1_sel:DWORD
	v_lshrrev_b32_e32 v32, 16, v4
	v_fma_f16 v9, v12, v9, -v11
	v_mul_f16_sdwa v11, v13, v2 dst_sel:DWORD dst_unused:UNUSED_PAD src0_sel:WORD_1 src1_sel:DWORD
	v_mul_f16_sdwa v37, v25, v5 dst_sel:DWORD dst_unused:UNUSED_PAD src0_sel:WORD_1 src1_sel:DWORD
	;; [unrolled: 1-line block ×3, first 2 shown]
	v_fma_f16 v10, v26, v10, -v29
	v_fmac_f16_e32 v34, v12, v1
	v_mul_f16_sdwa v1, v13, v30 dst_sel:DWORD dst_unused:UNUSED_PAD src0_sel:WORD_1 src1_sel:DWORD
	v_mul_f16_sdwa v12, v14, v31 dst_sel:DWORD dst_unused:UNUSED_PAD src0_sel:WORD_1 src1_sel:DWORD
	v_fma_f16 v29, v14, v31, -v35
	v_mul_f16_sdwa v31, v25, v33 dst_sel:DWORD dst_unused:UNUSED_PAD src0_sel:WORD_1 src1_sel:DWORD
	v_mul_f16_sdwa v36, v15, v4 dst_sel:DWORD dst_unused:UNUSED_PAD src0_sel:WORD_1 src1_sel:DWORD
	v_fma_f16 v11, v13, v30, -v11
	v_mul_f16_sdwa v30, v15, v32 dst_sel:DWORD dst_unused:UNUSED_PAD src0_sel:WORD_1 src1_sel:DWORD
	v_fmac_f16_e32 v38, v26, v8
	v_fmac_f16_e32 v1, v13, v2
	;; [unrolled: 1-line block ×4, first 2 shown]
	v_fma_f16 v3, v25, v33, -v37
	v_fmac_f16_e32 v30, v15, v4
	v_fma_f16 v2, v15, v32, -v36
	v_add_f16_e32 v4, v34, v38
	v_add_f16_e32 v5, v9, v10
	v_sub_f16_e32 v9, v9, v10
	v_add_f16_e32 v10, v1, v31
	v_add_f16_e32 v13, v11, v3
	v_sub_f16_e32 v1, v1, v31
	v_sub_f16_e32 v3, v11, v3
	v_add_f16_e32 v11, v12, v30
	v_add_f16_e32 v14, v29, v2
	v_sub_f16_e32 v12, v30, v12
	;; [unrolled: 4-line block ×3, first 2 shown]
	v_sub_f16_e32 v26, v10, v4
	v_sub_f16_e32 v29, v13, v5
	;; [unrolled: 1-line block ×6, first 2 shown]
	v_add_f16_e32 v30, v12, v1
	v_add_f16_e32 v31, v2, v3
	v_sub_f16_e32 v32, v12, v1
	v_sub_f16_e32 v33, v2, v3
	v_add_f16_e32 v11, v11, v15
	v_add_f16_e32 v14, v14, v25
	v_sub_f16_e32 v1, v1, v8
	v_sub_f16_e32 v3, v3, v9
	v_sub_f16_e32 v12, v8, v12
	v_sub_f16_e32 v2, v9, v2
	v_add_f16_e32 v8, v30, v8
	v_add_f16_e32 v9, v31, v9
	;; [unrolled: 1-line block ×3, first 2 shown]
	v_add_f16_sdwa v0, v0, v14 dst_sel:DWORD dst_unused:UNUSED_PAD src0_sel:WORD_1 src1_sel:DWORD
	v_mul_f16_e32 v4, 0x3a52, v4
	v_mul_f16_e32 v5, 0x3a52, v5
	v_mul_f16_e32 v25, 0x2b26, v10
	v_mul_f16_e32 v30, 0x2b26, v13
	v_mul_f16_e32 v31, 0x3846, v32
	v_mul_f16_e32 v32, 0x3846, v33
	v_mul_f16_e32 v33, 0xbb00, v1
	v_mul_f16_e32 v34, 0xbb00, v3
	v_fmamk_f16 v11, v11, 0xbcab, v15
	v_fmamk_f16 v14, v14, 0xbcab, v0
	;; [unrolled: 1-line block ×4, first 2 shown]
	v_fma_f16 v25, v26, 0x39e0, -v25
	v_fma_f16 v30, v29, 0x39e0, -v30
	;; [unrolled: 1-line block ×4, first 2 shown]
	v_fmamk_f16 v26, v12, 0xb574, v31
	v_fmamk_f16 v29, v2, 0xb574, v32
	v_fma_f16 v1, v1, 0xbb00, -v31
	v_fma_f16 v3, v3, 0xbb00, -v32
	v_fma_f16 v12, v12, 0x3574, -v33
	v_fma_f16 v2, v2, 0x3574, -v34
	v_add_f16_e32 v10, v10, v11
	v_add_f16_e32 v13, v13, v14
	v_fmac_f16_e32 v26, 0xb70e, v8
	v_fmac_f16_e32 v29, 0xb70e, v9
	v_add_f16_e32 v25, v25, v11
	v_add_f16_e32 v30, v30, v14
	;; [unrolled: 1-line block ×4, first 2 shown]
	v_fmac_f16_e32 v1, 0xb70e, v8
	v_fmac_f16_e32 v2, 0xb70e, v9
	;; [unrolled: 1-line block ×4, first 2 shown]
	v_add_f16_e32 v8, v29, v10
	v_sub_f16_e32 v9, v13, v26
	v_add_f16_e32 v11, v2, v4
	v_sub_f16_e32 v14, v5, v12
	v_sub_f16_e32 v31, v25, v3
	v_add_f16_e32 v32, v1, v30
	v_add_f16_e32 v3, v3, v25
	v_sub_f16_e32 v1, v30, v1
	v_sub_f16_e32 v2, v4, v2
	v_add_f16_e32 v4, v12, v5
	v_sub_f16_e32 v5, v10, v29
	v_add_f16_e32 v10, v26, v13
	v_pack_b32_f16 v0, v15, v0
	v_pack_b32_f16 v8, v8, v9
	;; [unrolled: 1-line block ×7, first 2 shown]
	ds_write2_b32 v55, v0, v8 offset1:26
	ds_write2_b32 v55, v9, v11 offset0:52 offset1:78
	ds_write2_b32 v55, v1, v2 offset0:104 offset1:130
	ds_write_b32 v55, v3 offset:624
	s_waitcnt lgkmcnt(0)
	s_barrier
	buffer_gl0_inv
	ds_read2_b32 v[0:1], v43 offset1:182
	ds_read2_b32 v[2:3], v6 offset0:44 offset1:226
	ds_read2_b32 v[4:5], v7 offset0:24 offset1:206
	ds_read_b32 v8, v43 offset:4368
	s_waitcnt lgkmcnt(3)
	v_lshrrev_b32_e32 v9, 16, v1
	s_waitcnt lgkmcnt(2)
	v_lshrrev_b32_e32 v10, 16, v2
	v_lshrrev_b32_e32 v11, 16, v3
	v_mul_f16_sdwa v13, v16, v1 dst_sel:DWORD dst_unused:UNUSED_PAD src0_sel:WORD_1 src1_sel:DWORD
	s_waitcnt lgkmcnt(1)
	v_lshrrev_b32_e32 v14, 16, v4
	v_mul_f16_sdwa v12, v16, v9 dst_sel:DWORD dst_unused:UNUSED_PAD src0_sel:WORD_1 src1_sel:DWORD
	v_lshrrev_b32_e32 v15, 16, v5
	s_waitcnt lgkmcnt(0)
	v_lshrrev_b32_e32 v25, 16, v8
	v_mul_f16_sdwa v26, v18, v3 dst_sel:DWORD dst_unused:UNUSED_PAD src0_sel:WORD_1 src1_sel:DWORD
	v_mul_f16_sdwa v29, v19, v14 dst_sel:DWORD dst_unused:UNUSED_PAD src0_sel:WORD_1 src1_sel:DWORD
	v_fmac_f16_e32 v12, v16, v1
	v_fma_f16 v1, v16, v9, -v13
	v_mul_f16_sdwa v9, v17, v10 dst_sel:DWORD dst_unused:UNUSED_PAD src0_sel:WORD_1 src1_sel:DWORD
	v_mul_f16_sdwa v13, v17, v2 dst_sel:DWORD dst_unused:UNUSED_PAD src0_sel:WORD_1 src1_sel:DWORD
	;; [unrolled: 1-line block ×3, first 2 shown]
	v_fmac_f16_e32 v29, v19, v4
	v_mul_f16_sdwa v4, v19, v4 dst_sel:DWORD dst_unused:UNUSED_PAD src0_sel:WORD_1 src1_sel:DWORD
	v_fmac_f16_e32 v9, v17, v2
	v_fma_f16 v2, v17, v10, -v13
	v_fmac_f16_e32 v16, v18, v3
	v_fma_f16 v3, v18, v11, -v26
	v_mul_f16_sdwa v10, v28, v25 dst_sel:DWORD dst_unused:UNUSED_PAD src0_sel:WORD_1 src1_sel:DWORD
	v_mul_f16_sdwa v11, v28, v8 dst_sel:DWORD dst_unused:UNUSED_PAD src0_sel:WORD_1 src1_sel:DWORD
	;; [unrolled: 1-line block ×4, first 2 shown]
	v_fma_f16 v4, v19, v14, -v4
	v_fmac_f16_e32 v10, v28, v8
	v_fma_f16 v8, v28, v25, -v11
	v_fmac_f16_e32 v13, v27, v5
	v_fma_f16 v5, v27, v15, -v17
	v_sub_f16_e32 v15, v29, v16
	v_add_f16_e32 v11, v12, v10
	v_add_f16_e32 v14, v1, v8
	v_sub_f16_e32 v10, v12, v10
	v_sub_f16_e32 v1, v1, v8
	v_add_f16_e32 v8, v9, v13
	v_add_f16_e32 v12, v2, v5
	v_sub_f16_e32 v9, v9, v13
	;; [unrolled: 4-line block ×3, first 2 shown]
	v_add_f16_e32 v4, v8, v11
	v_add_f16_e32 v16, v12, v14
	v_sub_f16_e32 v17, v8, v11
	v_sub_f16_e32 v18, v12, v14
	;; [unrolled: 1-line block ×6, first 2 shown]
	v_add_f16_e32 v19, v15, v9
	v_add_f16_e32 v25, v3, v2
	v_sub_f16_e32 v26, v15, v9
	v_sub_f16_e32 v27, v3, v2
	v_add_f16_e32 v4, v5, v4
	v_add_f16_e32 v5, v13, v16
	v_sub_f16_e32 v9, v9, v10
	v_sub_f16_e32 v2, v2, v1
	v_sub_f16_e32 v15, v10, v15
	v_sub_f16_e32 v3, v1, v3
	v_add_f16_e32 v10, v19, v10
	v_add_f16_e32 v1, v25, v1
	;; [unrolled: 1-line block ×3, first 2 shown]
	v_add_f16_sdwa v0, v0, v5 dst_sel:DWORD dst_unused:UNUSED_PAD src0_sel:WORD_1 src1_sel:DWORD
	v_mul_f16_e32 v11, 0x3a52, v11
	v_mul_f16_e32 v14, 0x3a52, v14
	;; [unrolled: 1-line block ×8, first 2 shown]
	v_fmamk_f16 v4, v4, 0xbcab, v13
	v_fmamk_f16 v5, v5, 0xbcab, v0
	;; [unrolled: 1-line block ×4, first 2 shown]
	v_fma_f16 v16, v17, 0x39e0, -v16
	v_fma_f16 v19, v18, 0x39e0, -v19
	v_fma_f16 v11, v17, 0xb9e0, -v11
	v_fma_f16 v14, v18, 0xb9e0, -v14
	v_fmamk_f16 v17, v15, 0xb574, v25
	v_fmamk_f16 v18, v3, 0xb574, v26
	v_fma_f16 v9, v9, 0xbb00, -v25
	v_fma_f16 v2, v2, 0xbb00, -v26
	;; [unrolled: 1-line block ×4, first 2 shown]
	v_add_f16_e32 v8, v8, v4
	v_add_f16_e32 v12, v12, v5
	v_fmac_f16_e32 v17, 0xb70e, v10
	v_fmac_f16_e32 v18, 0xb70e, v1
	v_add_f16_e32 v16, v16, v4
	v_add_f16_e32 v19, v19, v5
	v_add_f16_e32 v4, v11, v4
	v_add_f16_e32 v5, v14, v5
	v_fmac_f16_e32 v9, 0xb70e, v10
	v_fmac_f16_e32 v3, 0xb70e, v1
	;; [unrolled: 1-line block ×4, first 2 shown]
	v_add_f16_e32 v1, v18, v8
	v_sub_f16_e32 v10, v12, v17
	v_add_f16_e32 v11, v3, v4
	v_sub_f16_e32 v14, v5, v15
	v_sub_f16_e32 v25, v16, v2
	v_add_f16_e32 v26, v9, v19
	v_add_f16_e32 v2, v2, v16
	v_sub_f16_e32 v9, v19, v9
	v_sub_f16_e32 v3, v4, v3
	v_add_f16_e32 v4, v15, v5
	v_sub_f16_e32 v5, v8, v18
	v_add_f16_e32 v8, v17, v12
	v_pack_b32_f16 v0, v13, v0
	v_pack_b32_f16 v1, v1, v10
	;; [unrolled: 1-line block ×7, first 2 shown]
	ds_write2_b32 v43, v0, v1 offset1:182
	ds_write2_b32 v6, v10, v11 offset0:44 offset1:226
	ds_write2_b32 v7, v2, v3 offset0:24 offset1:206
	ds_write_b32 v43, v4 offset:4368
	s_waitcnt lgkmcnt(0)
	s_barrier
	buffer_gl0_inv
	ds_read2_b32 v[0:1], v43 offset1:182
	s_waitcnt lgkmcnt(0)
	v_lshrrev_b32_e32 v4, 16, v0
	v_mul_f16_sdwa v2, v50, v4 dst_sel:DWORD dst_unused:UNUSED_PAD src0_sel:WORD_1 src1_sel:DWORD
	v_fmac_f16_e32 v2, v50, v0
	v_mul_f16_sdwa v0, v50, v0 dst_sel:DWORD dst_unused:UNUSED_PAD src0_sel:WORD_1 src1_sel:DWORD
	v_cvt_f32_f16_e32 v2, v2
	v_fma_f16 v0, v50, v4, -v0
	v_cvt_f64_f32_e32 v[2:3], v2
	v_cvt_f32_f16_e32 v0, v0
	v_cvt_f64_f32_e32 v[4:5], v0
	v_add_nc_u32_e32 v0, 0x900, v43
	ds_read2_b32 v[6:7], v0 offset0:61 offset1:243
	v_mul_f64 v[2:3], v[2:3], s[4:5]
	v_mul_f64 v[4:5], v[4:5], s[4:5]
	s_waitcnt lgkmcnt(0)
	v_lshrrev_b32_e32 v14, 16, v6
	v_mul_f16_sdwa v13, v49, v14 dst_sel:DWORD dst_unused:UNUSED_PAD src0_sel:WORD_1 src1_sel:DWORD
	v_fmac_f16_e32 v13, v49, v6
	v_mul_f16_sdwa v6, v49, v6 dst_sel:DWORD dst_unused:UNUSED_PAD src0_sel:WORD_1 src1_sel:DWORD
	v_and_or_b32 v2, 0x1ff, v3, v2
	v_bfe_u32 v8, v3, 20, 11
	v_fma_f16 v6, v49, v14, -v6
	v_cmp_ne_u32_e64 s0, 0, v2
	v_lshrrev_b32_e32 v2, 8, v3
	v_and_or_b32 v4, 0x1ff, v5, v4
	v_lshrrev_b32_e32 v11, 8, v5
	v_bfe_u32 v12, v5, 20, 11
	v_cndmask_b32_e64 v0, 0, 1, s0
	v_add_nc_u32_e32 v15, 0xfffffc10, v8
	v_cmp_ne_u32_e64 s0, 0, v4
	v_cvt_f32_f16_e32 v6, v6
	v_lshrrev_b32_e32 v5, 16, v5
	v_and_or_b32 v2, 0xffe, v2, v0
	v_sub_nc_u32_e32 v0, 0x3f1, v8
	v_cndmask_b32_e64 v4, 0, 1, s0
	v_or_b32_e32 v9, 0x1000, v2
	v_med3_i32 v0, v0, 0, 13
	v_and_or_b32 v4, 0xffe, v11, v4
	v_sub_nc_u32_e32 v11, 0x3f1, v12
	v_lshrrev_b32_e32 v10, v0, v9
	v_or_b32_e32 v16, 0x1000, v4
	v_med3_i32 v17, v11, 0, 13
	v_cvt_f32_f16_e32 v11, v13
	v_lshl_or_b32 v13, v15, 12, v2
	v_lshlrev_b32_e32 v0, v0, v10
	v_lshrrev_b32_e32 v18, v17, v16
	v_cmp_ne_u32_e64 s0, v0, v9
	v_mad_u64_u32 v[8:9], null, s10, v22, 0
	v_cndmask_b32_e64 v0, 0, 1, s0
	v_cmp_gt_i32_e64 s0, 1, v15
	v_or_b32_e32 v0, v10, v0
	v_cvt_f64_f32_e32 v[10:11], v11
	v_cndmask_b32_e64 v19, v13, v0, s0
	v_lshlrev_b32_e32 v13, v17, v18
	v_mov_b32_e32 v0, v9
	v_add_nc_u32_e32 v17, 0xfffffc10, v12
	v_and_b32_e32 v9, 7, v19
	v_cmp_ne_u32_e64 s0, v13, v16
	v_mad_u64_u32 v[12:13], null, s11, v22, v[0:1]
	v_lshl_or_b32 v13, v17, 12, v4
	v_cmp_eq_u32_e64 s1, 3, v9
	v_cndmask_b32_e64 v16, 0, 1, s0
	v_cmp_lt_i32_e64 s0, 5, v9
	v_cmp_gt_i32_e64 s2, 1, v17
	v_or_b32_e32 v0, v18, v16
	v_lshrrev_b32_e32 v16, 2, v19
	s_or_b32 s0, s1, s0
	v_mul_f64 v[9:10], v[10:11], s[4:5]
	v_lshrrev_b32_e32 v18, 16, v1
	v_cndmask_b32_e64 v0, v13, v0, s2
	v_add_co_ci_u32_e64 v11, s0, 0, v16, s0
	v_cmp_ne_u32_e64 s0, 0, v2
	v_cmp_eq_u32_e64 s2, 0x40f, v15
	v_and_b32_e32 v13, 7, v0
	v_lshrrev_b32_e32 v0, 2, v0
	v_cndmask_b32_e64 v2, 0, 1, s0
	v_cmp_gt_i32_e64 s0, 31, v15
	v_cmp_eq_u32_e64 s1, 3, v13
	v_lshl_or_b32 v2, v2, 9, 0x7c00
	v_cndmask_b32_e64 v11, 0x7c00, v11, s0
	v_cmp_lt_i32_e64 s0, 5, v13
	v_cvt_f64_f32_e32 v[13:14], v6
	v_cndmask_b32_e64 v6, v11, v2, s2
	s_or_b32 s0, s1, s0
	v_lshrrev_b32_e32 v11, 16, v3
	v_add_co_ci_u32_e64 v0, s0, 0, v0, s0
	v_cmp_ne_u32_e64 s0, 0, v4
	v_and_or_b32 v4, 0x1ff, v10, v9
	v_lshrrev_b32_e32 v15, 8, v10
	v_bfe_u32 v16, v10, 20, 11
	v_and_or_b32 v6, 0x8000, v11, v6
	v_cndmask_b32_e64 v2, 0, 1, s0
	v_cmp_gt_i32_e64 s0, 31, v17
	v_mul_f16_sdwa v11, v47, v18 dst_sel:DWORD dst_unused:UNUSED_PAD src0_sel:WORD_1 src1_sel:DWORD
	v_lshrrev_b32_e32 v10, 16, v10
	v_and_b32_e32 v6, 0xffff, v6
	v_lshl_or_b32 v9, v2, 9, 0x7c00
	v_cndmask_b32_e64 v0, 0x7c00, v0, s0
	v_cmp_ne_u32_e64 s0, 0, v4
	v_mad_u64_u32 v[2:3], null, s8, v48, 0
	v_mul_f64 v[13:14], v[13:14], s[4:5]
	v_fmac_f16_e32 v11, v47, v1
	v_cndmask_b32_e64 v4, 0, 1, s0
	v_cmp_eq_u32_e64 s0, 0x40f, v17
	v_sub_nc_u32_e32 v17, 0x3f1, v16
	v_and_or_b32 v15, 0xffe, v15, v4
	v_cndmask_b32_e64 v9, v0, v9, s0
	v_mov_b32_e32 v0, v3
	v_and_or_b32 v5, 0x8000, v5, v9
	v_mad_u64_u32 v[3:4], null, s9, v48, v[0:1]
	v_or_b32_e32 v0, 0x1000, v15
	v_med3_i32 v4, v17, 0, 13
	v_mov_b32_e32 v9, v12
	v_lshl_or_b32 v6, v5, 16, v6
	v_mul_f16_sdwa v1, v47, v1 dst_sel:DWORD dst_unused:UNUSED_PAD src0_sel:WORD_1 src1_sel:DWORD
	v_lshrrev_b32_e32 v17, v4, v0
	v_lshlrev_b64 v[2:3], 2, v[2:3]
	v_fma_f16 v1, v47, v18, -v1
	v_lshlrev_b32_e32 v12, v4, v17
	v_lshlrev_b64 v[4:5], 2, v[8:9]
	v_and_or_b32 v8, 0x1ff, v14, v13
	v_cvt_f32_f16_e32 v9, v11
	v_add_nc_u32_e32 v11, 0xfffffc10, v16
	v_cmp_ne_u32_e64 s0, v12, v0
	v_lshrrev_b32_e32 v13, 8, v14
	v_bfe_u32 v16, v14, 20, 11
	v_cvt_f32_f16_e32 v1, v1
	v_cndmask_b32_e64 v0, 0, 1, s0
	v_cmp_ne_u32_e64 s0, 0, v8
	v_cvt_f64_f32_e32 v[8:9], v9
	v_or_b32_e32 v0, v17, v0
	v_cndmask_b32_e64 v12, 0, 1, s0
	v_add_co_u32 v4, s0, s6, v4
	v_add_co_ci_u32_e64 v5, s0, s7, v5, s0
	v_lshl_or_b32 v17, v11, 12, v15
	v_and_or_b32 v12, 0xffe, v13, v12
	v_sub_nc_u32_e32 v13, 0x3f1, v16
	v_cmp_gt_i32_e64 s0, 1, v11
	v_med3_i32 v13, v13, 0, 13
	v_cndmask_b32_e64 v0, v17, v0, s0
	v_or_b32_e32 v17, 0x1000, v12
	v_add_co_u32 v2, s0, v4, v2
	v_add_co_ci_u32_e64 v3, s0, v5, v3, s0
	v_lshrrev_b32_e32 v19, v13, v17
	v_and_b32_e32 v22, 7, v0
	v_mul_f64 v[4:5], v[8:9], s[4:5]
	global_store_dword v[2:3], v6, off
	v_lshrrev_b32_e32 v0, 2, v0
	v_lshlrev_b32_e32 v6, v13, v19
	v_cmp_lt_i32_e64 s0, 5, v22
	v_cmp_eq_u32_e64 s1, 3, v22
	v_add_nc_u32_e32 v8, 0xfffffc10, v16
	v_cmp_ne_u32_e64 s2, v6, v17
	s_or_b32 s0, s1, s0
	v_lshl_or_b32 v13, v8, 12, v12
	v_add_co_ci_u32_e64 v9, s0, 0, v0, s0
	v_cndmask_b32_e64 v6, 0, 1, s2
	v_cmp_ne_u32_e64 s0, 0, v15
	v_cvt_f64_f32_e32 v[0:1], v1
	s_mul_hi_u32 s2, s8, 0x27d
	v_or_b32_e32 v6, v19, v6
	v_cndmask_b32_e64 v15, 0, 1, s0
	v_cmp_gt_i32_e64 s0, 1, v8
	v_and_or_b32 v4, 0x1ff, v5, v4
	v_lshrrev_b32_e32 v16, 8, v5
	v_bfe_u32 v17, v5, 20, 11
	v_lshrrev_b32_e32 v5, 16, v5
	v_cndmask_b32_e64 v6, v13, v6, s0
	v_cmp_gt_i32_e64 s0, 31, v11
	v_lshl_or_b32 v13, v15, 9, 0x7c00
	v_and_b32_e32 v15, 7, v6
	v_cndmask_b32_e64 v9, 0x7c00, v9, s0
	v_cmp_ne_u32_e64 s0, 0, v4
	v_lshrrev_b32_e32 v6, 2, v6
	v_cmp_eq_u32_e64 s1, 3, v15
	v_cndmask_b32_e64 v4, 0, 1, s0
	v_cmp_eq_u32_e64 s0, 0x40f, v11
	v_mul_f64 v[0:1], v[0:1], s[4:5]
	v_sub_nc_u32_e32 v11, 0x3f1, v17
	v_and_or_b32 v4, 0xffe, v16, v4
	v_cndmask_b32_e64 v9, v9, v13, s0
	v_cmp_lt_i32_e64 s0, 5, v15
	v_med3_i32 v11, v11, 0, 13
	v_lshrrev_b32_e32 v15, 16, v7
	v_or_b32_e32 v13, 0x1000, v4
	v_and_or_b32 v10, 0x8000, v10, v9
	s_or_b32 s0, s1, s0
	s_mul_i32 s1, s9, 0x27d
	v_add_co_ci_u32_e64 v6, s0, 0, v6, s0
	v_cmp_ne_u32_e64 s0, 0, v12
	v_lshrrev_b32_e32 v18, v11, v13
	v_mul_f16_sdwa v16, v46, v15 dst_sel:DWORD dst_unused:UNUSED_PAD src0_sel:WORD_1 src1_sel:DWORD
	v_and_b32_e32 v10, 0xffff, v10
	s_add_i32 s3, s2, s1
	v_cndmask_b32_e64 v12, 0, 1, s0
	v_cmp_gt_i32_e64 s0, 31, v8
	v_lshlrev_b32_e32 v11, v11, v18
	v_fmac_f16_e32 v16, v46, v7
	v_and_or_b32 v0, 0x1ff, v1, v0
	v_lshl_or_b32 v12, v12, 9, 0x7c00
	v_cndmask_b32_e64 v6, 0x7c00, v6, s0
	v_cmp_eq_u32_e64 s0, 0x40f, v8
	v_cvt_f32_f16_e32 v8, v16
	v_lshrrev_b32_e32 v16, 8, v1
	v_mul_f16_sdwa v7, v46, v7 dst_sel:DWORD dst_unused:UNUSED_PAD src0_sel:WORD_1 src1_sel:DWORD
	s_mul_i32 s2, s8, 0x27d
	v_cndmask_b32_e64 v6, v6, v12, s0
	v_cmp_ne_u32_e64 s0, v11, v13
	v_add_nc_u32_e32 v12, 0xfffffc10, v17
	v_cvt_f64_f32_e32 v[8:9], v8
	v_lshrrev_b32_e32 v13, 16, v14
	v_bfe_u32 v17, v1, 20, 11
	v_cndmask_b32_e64 v11, 0, 1, s0
	v_cmp_ne_u32_e64 s0, 0, v0
	v_lshl_or_b32 v14, v12, 12, v4
	v_and_or_b32 v6, 0x8000, v13, v6
	s_lshl_b64 s[10:11], s[2:3], 2
	v_or_b32_e32 v11, v18, v11
	v_cndmask_b32_e64 v0, 0, 1, s0
	v_cmp_gt_i32_e64 s0, 1, v12
	s_mul_hi_u32 s2, s8, 0xfffffe39
	v_and_or_b32 v0, 0xffe, v16, v0
	v_cndmask_b32_e64 v11, v14, v11, s0
	v_sub_nc_u32_e32 v14, 0x3f1, v17
	v_or_b32_e32 v16, 0x1000, v0
	v_and_b32_e32 v13, 7, v11
	v_med3_i32 v14, v14, 0, 13
	v_mul_f64 v[8:9], v[8:9], s[4:5]
	v_cmp_lt_i32_e64 s0, 5, v13
	v_cmp_eq_u32_e64 s1, 3, v13
	v_lshl_or_b32 v13, v6, 16, v10
	v_lshrrev_b32_e32 v6, 2, v11
	v_lshrrev_b32_e32 v18, v14, v16
	v_add_nc_u32_e32 v11, 0xfffffc10, v17
	s_or_b32 s0, s1, s0
	v_add_co_ci_u32_e64 v6, s0, 0, v6, s0
	v_lshlrev_b32_e32 v10, v14, v18
	v_cmp_ne_u32_e64 s0, 0, v4
	v_cndmask_b32_e64 v4, 0, 1, s0
	v_cmp_ne_u32_e64 s0, v10, v16
	v_and_or_b32 v8, 0x1ff, v9, v8
	v_lshrrev_b32_e32 v16, 8, v9
	v_lshl_or_b32 v4, v4, 9, 0x7c00
	v_cndmask_b32_e64 v10, 0, 1, s0
	v_cmp_gt_i32_e64 s0, 31, v12
	v_bfe_u32 v17, v9, 20, 11
	v_cndmask_b32_e64 v14, 0x7c00, v6, s0
	v_fma_f16 v6, v46, v15, -v7
	v_or_b32_e32 v7, v18, v10
	v_lshl_or_b32 v10, v11, 12, v0
	v_cmp_gt_i32_e64 s0, 1, v11
	ds_read_b32 v15, v43 offset:1456
	v_cvt_f32_f16_e32 v6, v6
	v_cndmask_b32_e64 v10, v10, v7, s0
	v_cmp_ne_u32_e64 s0, 0, v8
	v_cvt_f64_f32_e32 v[6:7], v6
	v_and_b32_e32 v18, 7, v10
	v_cndmask_b32_e64 v8, 0, 1, s0
	v_cmp_eq_u32_e64 s0, 0x40f, v12
	v_lshrrev_b32_e32 v10, 2, v10
	v_sub_nc_u32_e32 v12, 0x3f1, v17
	v_cmp_eq_u32_e64 s1, 3, v18
	v_and_or_b32 v8, 0xffe, v16, v8
	ds_read_b32 v16, v43 offset:4004
	v_cndmask_b32_e64 v4, v14, v4, s0
	v_cmp_lt_i32_e64 s0, 5, v18
	v_med3_i32 v12, v12, 0, 13
	v_or_b32_e32 v14, 0x1000, v8
	s_waitcnt lgkmcnt(1)
	v_lshrrev_b32_e32 v18, 16, v15
	v_and_or_b32 v4, 0x8000, v5, v4
	s_or_b32 s0, s1, s0
	s_mul_i32 s1, s9, 0xfffffe39
	v_add_co_ci_u32_e64 v10, s0, 0, v10, s0
	v_cmp_ne_u32_e64 s0, 0, v0
	v_mul_f64 v[6:7], v[6:7], s[4:5]
	v_lshrrev_b32_e32 v19, v12, v14
	v_mul_f16_sdwa v22, v45, v18 dst_sel:DWORD dst_unused:UNUSED_PAD src0_sel:WORD_1 src1_sel:DWORD
	v_and_b32_e32 v4, 0xffff, v4
	v_cndmask_b32_e64 v0, 0, 1, s0
	v_cmp_gt_i32_e64 s0, 31, v11
	v_lshlrev_b32_e32 v12, v12, v19
	v_fmac_f16_e32 v22, v45, v15
	v_lshl_or_b32 v0, v0, 9, 0x7c00
	v_cndmask_b32_e64 v10, 0x7c00, v10, s0
	v_cmp_eq_u32_e64 s0, 0x40f, v11
	v_lshrrev_b32_e32 v11, 16, v1
	v_cndmask_b32_e64 v10, v10, v0, s0
	v_cmp_ne_u32_e64 s0, v12, v14
	v_cvt_f32_f16_e32 v0, v22
	v_add_nc_u32_e32 v14, 0xfffffc10, v17
	v_and_or_b32 v5, 0x8000, v11, v10
	v_cndmask_b32_e64 v12, 0, 1, s0
	v_cvt_f64_f32_e32 v[0:1], v0
	v_add_co_u32 v2, s0, v2, s10
	v_add_co_ci_u32_e64 v3, s0, s11, v3, s0
	v_or_b32_e32 v10, v19, v12
	v_lshl_or_b32 v11, v14, 12, v8
	v_and_or_b32 v6, 0x1ff, v7, v6
	v_cmp_gt_i32_e64 s0, 1, v14
	v_bfe_u32 v12, v7, 20, 11
	v_cndmask_b32_e64 v10, v11, v10, s0
	v_cmp_ne_u32_e64 s0, 0, v6
	v_lshrrev_b32_e32 v11, 8, v7
	v_and_b32_e32 v17, 7, v10
	v_cndmask_b32_e64 v6, 0, 1, s0
	s_sub_i32 s0, s2, s8
	v_lshrrev_b32_e32 v10, 2, v10
	s_add_i32 s3, s0, s1
	v_cmp_lt_i32_e64 s0, 5, v17
	v_and_or_b32 v6, 0xffe, v11, v6
	v_sub_nc_u32_e32 v11, 0x3f1, v12
	v_cmp_eq_u32_e64 s1, 3, v17
	v_mul_f64 v[0:1], v[0:1], s[4:5]
	v_lshl_or_b32 v17, v5, 16, v4
	v_or_b32_e32 v19, 0x1000, v6
	v_med3_i32 v11, v11, 0, 13
	s_or_b32 s0, s1, s0
	v_add_nc_u32_e32 v12, 0xfffffc10, v12
	v_add_co_ci_u32_e64 v5, s0, 0, v10, s0
	v_lshrrev_b32_e32 v4, v11, v19
	v_cmp_ne_u32_e64 s0, 0, v8
	s_mul_i32 s2, s8, 0xfffffe39
	s_lshl_b64 s[8:9], s[2:3], 2
	v_lshlrev_b32_e32 v10, v11, v4
	v_cndmask_b32_e64 v8, 0, 1, s0
	v_cmp_gt_i32_e64 s0, 31, v14
	v_mul_f16_sdwa v11, v45, v15 dst_sel:DWORD dst_unused:UNUSED_PAD src0_sel:WORD_1 src1_sel:DWORD
	v_lshl_or_b32 v8, v8, 9, 0x7c00
	v_cndmask_b32_e64 v5, 0x7c00, v5, s0
	v_cmp_ne_u32_e64 s0, v10, v19
	v_and_or_b32 v0, 0x1ff, v1, v0
	v_fma_f16 v11, v45, v18, -v11
	v_bfe_u32 v15, v1, 20, 11
	s_waitcnt lgkmcnt(0)
	v_lshrrev_b32_e32 v18, 16, v16
	v_cndmask_b32_e64 v10, 0, 1, s0
	v_cmp_eq_u32_e64 s0, 0x40f, v14
	v_mul_f16_sdwa v26, v44, v18 dst_sel:DWORD dst_unused:UNUSED_PAD src0_sel:WORD_1 src1_sel:DWORD
	v_cndmask_b32_e64 v14, v5, v8, s0
	v_cmp_ne_u32_e64 s0, 0, v0
	v_or_b32_e32 v8, v4, v10
	v_cvt_f32_f16_e32 v4, v11
	v_lshl_or_b32 v10, v12, 12, v6
	v_lshrrev_b32_e32 v11, 8, v1
	v_cndmask_b32_e64 v0, 0, 1, s0
	v_cmp_gt_i32_e64 s0, 1, v12
	v_cvt_f64_f32_e32 v[4:5], v4
	v_fmac_f16_e32 v26, v44, v16
	v_mul_f16_sdwa v16, v44, v16 dst_sel:DWORD dst_unused:UNUSED_PAD src0_sel:WORD_1 src1_sel:DWORD
	v_and_or_b32 v0, 0xffe, v11, v0
	v_cndmask_b32_e64 v10, v10, v8, s0
	v_sub_nc_u32_e32 v8, 0x3f1, v15
	v_lshrrev_b32_e32 v11, 16, v9
	v_add_nc_u32_e32 v15, 0xfffffc10, v15
	v_or_b32_e32 v22, 0x1000, v0
	v_and_b32_e32 v19, 7, v10
	v_med3_i32 v25, v8, 0, 13
	v_add_co_u32 v8, s0, v2, s8
	v_add_co_ci_u32_e64 v9, s0, s9, v3, s0
	v_lshrrev_b32_e32 v27, v25, v22
	v_cmp_lt_i32_e64 s0, 5, v19
	v_cmp_eq_u32_e64 s1, 3, v19
	v_lshrrev_b32_e32 v10, 2, v10
	v_and_or_b32 v14, 0x8000, v11, v14
	v_lshlrev_b32_e32 v19, v25, v27
	v_cvt_f32_f16_e32 v11, v26
	s_or_b32 s0, s1, s0
	v_mul_f64 v[4:5], v[4:5], s[4:5]
	v_add_co_ci_u32_e64 v25, s0, 0, v10, s0
	v_cmp_ne_u32_e64 s0, v19, v22
	v_cvt_f64_f32_e32 v[10:11], v11
	v_lshl_or_b32 v22, v15, 12, v0
	v_fma_f16 v16, v44, v18, -v16
	v_and_b32_e32 v14, 0xffff, v14
	v_cndmask_b32_e64 v19, 0, 1, s0
	v_cmp_ne_u32_e64 s0, 0, v6
	v_lshrrev_b32_e32 v1, 16, v1
	v_cvt_f32_f16_e32 v16, v16
	v_or_b32_e32 v19, v27, v19
	v_cndmask_b32_e64 v6, 0, 1, s0
	v_cmp_gt_i32_e64 s0, 31, v12
	v_lshl_or_b32 v6, v6, 9, 0x7c00
	v_cndmask_b32_e64 v18, 0x7c00, v25, s0
	v_cmp_gt_i32_e64 s0, 1, v15
	v_and_or_b32 v4, 0x1ff, v5, v4
	v_bfe_u32 v25, v5, 20, 11
	v_cndmask_b32_e64 v19, v22, v19, s0
	v_cmp_eq_u32_e64 s0, 0x40f, v12
	v_mul_f64 v[10:11], v[10:11], s[4:5]
	v_lshrrev_b32_e32 v22, 8, v5
	v_lshrrev_b32_e32 v5, 16, v5
	v_cndmask_b32_e64 v12, v18, v6, s0
	v_lshrrev_b32_e32 v18, 16, v7
	v_cvt_f64_f32_e32 v[6:7], v16
	v_cmp_ne_u32_e64 s0, 0, v4
	v_and_b32_e32 v16, 7, v19
	v_and_or_b32 v12, 0x8000, v18, v12
	v_sub_nc_u32_e32 v18, 0x3f1, v25
	v_cndmask_b32_e64 v4, 0, 1, s0
	v_cmp_lt_i32_e64 s0, 5, v16
	v_cmp_eq_u32_e64 s1, 3, v16
	v_lshl_or_b32 v12, v12, 16, v14
	v_lshrrev_b32_e32 v14, 2, v19
	v_and_or_b32 v4, 0xffe, v22, v4
	v_med3_i32 v18, v18, 0, 13
	s_or_b32 s0, s1, s0
	v_add_co_ci_u32_e64 v14, s0, 0, v14, s0
	v_or_b32_e32 v16, 0x1000, v4
	v_cmp_ne_u32_e64 s0, 0, v0
	v_and_or_b32 v10, 0x1ff, v11, v10
	v_lshrrev_b32_e32 v22, 8, v11
	v_bfe_u32 v26, v11, 20, 11
	v_lshrrev_b32_e32 v19, v18, v16
	v_cndmask_b32_e64 v0, 0, 1, s0
	v_cmp_gt_i32_e64 s0, 31, v15
	v_mul_f64 v[6:7], v[6:7], s[4:5]
	v_lshrrev_b32_e32 v11, 16, v11
	v_lshlrev_b32_e32 v18, v18, v19
	v_lshl_or_b32 v0, v0, 9, 0x7c00
	v_cndmask_b32_e64 v14, 0x7c00, v14, s0
	v_cmp_ne_u32_e64 s0, 0, v10
	v_cndmask_b32_e64 v10, 0, 1, s0
	v_cmp_ne_u32_e64 s0, v18, v16
	v_add_nc_u32_e32 v18, 0xfffffc10, v25
	v_and_or_b32 v10, 0xffe, v22, v10
	v_cndmask_b32_e64 v16, 0, 1, s0
	v_sub_nc_u32_e32 v22, 0x3f1, v26
	v_cmp_eq_u32_e64 s0, 0x40f, v15
	v_lshl_or_b32 v15, v18, 12, v4
	v_and_or_b32 v6, 0x1ff, v7, v6
	v_cndmask_b32_e64 v0, v14, v0, s0
	v_or_b32_e32 v14, v19, v16
	v_or_b32_e32 v16, 0x1000, v10
	v_med3_i32 v19, v22, 0, 13
	v_cmp_gt_i32_e64 s0, 1, v18
	v_lshrrev_b32_e32 v22, 8, v7
	v_bfe_u32 v25, v7, 20, 11
	v_and_or_b32 v0, 0x8000, v1, v0
	v_cndmask_b32_e64 v14, v15, v14, s0
	v_lshrrev_b32_e32 v15, v19, v16
	v_cmp_ne_u32_e64 s0, 0, v6
	v_and_b32_e32 v0, 0xffff, v0
	v_and_b32_e32 v27, 7, v14
	v_lshlrev_b32_e32 v19, v19, v15
	v_cndmask_b32_e64 v6, 0, 1, s0
	v_lshrrev_b32_e32 v14, 2, v14
	v_cmp_lt_i32_e64 s0, 5, v27
	v_cmp_ne_u32_e64 s1, v19, v16
	v_and_or_b32 v1, 0xffe, v22, v6
	v_sub_nc_u32_e32 v6, 0x3f1, v25
	v_add_nc_u32_e32 v22, 0xfffffc10, v26
	v_cndmask_b32_e64 v16, 0, 1, s1
	v_cmp_eq_u32_e64 s1, 3, v27
	v_or_b32_e32 v19, 0x1000, v1
	v_med3_i32 v6, v6, 0, 13
	v_lshl_or_b32 v26, v22, 12, v10
	v_or_b32_e32 v15, v15, v16
	s_or_b32 s0, s1, s0
	v_add_co_ci_u32_e64 v14, s0, 0, v14, s0
	v_lshrrev_b32_e32 v16, v6, v19
	v_cmp_gt_i32_e64 s0, 1, v22
	v_lshlrev_b32_e32 v6, v6, v16
	v_cndmask_b32_e64 v15, v26, v15, s0
	v_cmp_ne_u32_e64 s0, 0, v4
	v_cndmask_b32_e64 v4, 0, 1, s0
	v_cmp_ne_u32_e64 s0, v6, v19
	v_add_nc_u32_e32 v19, 0xfffffc10, v25
	v_and_b32_e32 v25, 7, v15
	v_lshl_or_b32 v4, v4, 9, 0x7c00
	v_cndmask_b32_e64 v6, 0, 1, s0
	v_cmp_gt_i32_e64 s0, 31, v18
	v_cmp_gt_i32_e64 s2, 1, v19
	v_cmp_eq_u32_e64 s1, 3, v25
	v_or_b32_e32 v6, v16, v6
	v_lshl_or_b32 v16, v19, 12, v1
	v_cndmask_b32_e64 v14, 0x7c00, v14, s0
	v_cmp_lt_i32_e64 s0, 5, v25
	v_cndmask_b32_e64 v6, v16, v6, s2
	v_cmp_eq_u32_e64 s2, 0x40f, v18
	s_or_b32 s0, s1, s0
	v_cndmask_b32_e64 v4, v14, v4, s2
	v_lshrrev_b32_e32 v14, 2, v15
	v_and_b32_e32 v15, 7, v6
	v_lshrrev_b32_e32 v6, 2, v6
	v_cmp_gt_i32_e64 s2, 31, v22
	v_add_co_ci_u32_e64 v14, s0, 0, v14, s0
	v_cmp_ne_u32_e64 s0, 0, v10
	v_cmp_eq_u32_e64 s1, 3, v15
	v_cndmask_b32_e64 v14, 0x7c00, v14, s2
	v_cndmask_b32_e64 v10, 0, 1, s0
	v_cmp_lt_i32_e64 s0, 5, v15
	v_lshl_or_b32 v10, v10, 9, 0x7c00
	s_or_b32 s0, s1, s0
	v_add_co_ci_u32_e64 v6, s0, 0, v6, s0
	v_cmp_ne_u32_e64 s0, 0, v1
	v_cndmask_b32_e64 v1, 0, 1, s0
	v_cmp_eq_u32_e64 s0, 0x40f, v22
	v_lshl_or_b32 v1, v1, 9, 0x7c00
	v_cndmask_b32_e64 v10, v14, v10, s0
	v_cmp_gt_i32_e64 s0, 31, v19
	v_and_or_b32 v14, 0x8000, v5, v4
	v_and_or_b32 v10, 0x8000, v11, v10
	v_cndmask_b32_e64 v6, 0x7c00, v6, s0
	v_cmp_eq_u32_e64 s0, 0x40f, v19
	v_lshl_or_b32 v11, v14, 16, v0
	v_cndmask_b32_e64 v1, v6, v1, s0
	v_lshrrev_b32_e32 v6, 16, v7
	v_add_co_u32 v4, s0, v8, s10
	v_add_co_ci_u32_e64 v5, s0, s11, v9, s0
	v_and_or_b32 v0, 0x8000, v6, v1
	v_and_b32_e32 v1, 0xffff, v10
	v_add_co_u32 v6, s0, v4, s8
	v_add_co_ci_u32_e64 v7, s0, s9, v5, s0
	v_lshl_or_b32 v10, v0, 16, v1
	v_add_co_u32 v0, s0, v6, s10
	v_add_co_ci_u32_e64 v1, s0, s11, v7, s0
	global_store_dword v[2:3], v13, off
	global_store_dword v[8:9], v17, off
	;; [unrolled: 1-line block ×5, first 2 shown]
	s_and_b32 exec_lo, exec_lo, vcc_lo
	s_cbranch_execz .LBB0_23
; %bb.22:
	s_clause 0x1
	global_load_dword v2, v[20:21], off offset:136
	global_load_dword v4, v[23:24], off offset:636
	ds_read_b32 v3, v43 offset:2184
	ds_read_b32 v5, v43 offset:4732
	s_waitcnt lgkmcnt(1)
	v_lshrrev_b32_e32 v6, 16, v3
	s_waitcnt lgkmcnt(0)
	v_lshrrev_b32_e32 v8, 16, v5
	s_waitcnt vmcnt(1)
	v_mul_f16_sdwa v7, v6, v2 dst_sel:DWORD dst_unused:UNUSED_PAD src0_sel:DWORD src1_sel:WORD_1
	v_mul_f16_sdwa v9, v3, v2 dst_sel:DWORD dst_unused:UNUSED_PAD src0_sel:DWORD src1_sel:WORD_1
	s_waitcnt vmcnt(0)
	v_mul_f16_sdwa v10, v8, v4 dst_sel:DWORD dst_unused:UNUSED_PAD src0_sel:DWORD src1_sel:WORD_1
	v_fmac_f16_e32 v7, v3, v2
	v_fma_f16 v2, v2, v6, -v9
	v_mul_f16_sdwa v6, v5, v4 dst_sel:DWORD dst_unused:UNUSED_PAD src0_sel:DWORD src1_sel:WORD_1
	v_fmac_f16_e32 v10, v5, v4
	v_cvt_f32_f16_e32 v3, v7
	v_cvt_f32_f16_e32 v5, v2
	v_fma_f16 v6, v4, v8, -v6
	v_cvt_f32_f16_e32 v7, v10
	v_cvt_f64_f32_e32 v[2:3], v3
	v_cvt_f64_f32_e32 v[4:5], v5
	v_cvt_f32_f16_e32 v8, v6
	v_cvt_f64_f32_e32 v[6:7], v7
	v_cvt_f64_f32_e32 v[8:9], v8
	v_mul_f64 v[2:3], v[2:3], s[4:5]
	v_mul_f64 v[4:5], v[4:5], s[4:5]
	;; [unrolled: 1-line block ×4, first 2 shown]
	v_and_or_b32 v2, 0x1ff, v3, v2
	v_and_or_b32 v4, 0x1ff, v5, v4
	v_lshrrev_b32_e32 v10, 8, v3
	v_and_or_b32 v6, 0x1ff, v7, v6
	v_bfe_u32 v11, v3, 20, 11
	v_cmp_ne_u32_e32 vcc_lo, 0, v2
	v_lshrrev_b32_e32 v12, 8, v5
	v_and_or_b32 v8, 0x1ff, v9, v8
	v_bfe_u32 v13, v5, 20, 11
	v_lshrrev_b32_e32 v14, 8, v7
	v_cndmask_b32_e64 v2, 0, 1, vcc_lo
	v_cmp_ne_u32_e32 vcc_lo, 0, v4
	v_bfe_u32 v15, v7, 20, 11
	v_bfe_u32 v17, v9, 20, 11
	v_sub_nc_u32_e32 v18, 0x3f1, v11
	v_and_or_b32 v2, 0xffe, v10, v2
	v_cndmask_b32_e64 v4, 0, 1, vcc_lo
	v_cmp_ne_u32_e32 vcc_lo, 0, v6
	v_add_nc_u32_e32 v11, 0xfffffc10, v11
	v_sub_nc_u32_e32 v19, 0x3f1, v13
	v_lshrrev_b32_e32 v16, 8, v9
	v_and_or_b32 v4, 0xffe, v12, v4
	v_cndmask_b32_e64 v6, 0, 1, vcc_lo
	v_cmp_ne_u32_e32 vcc_lo, 0, v8
	v_add_nc_u32_e32 v13, 0xfffffc10, v13
	v_sub_nc_u32_e32 v20, 0x3f1, v15
	v_sub_nc_u32_e32 v21, 0x3f1, v17
	v_med3_i32 v10, v18, 0, 13
	v_cndmask_b32_e64 v8, 0, 1, vcc_lo
	v_cmp_ne_u32_e32 vcc_lo, 0, v2
	v_med3_i32 v12, v19, 0, 13
	v_and_or_b32 v6, 0xffe, v14, v6
	v_or_b32_e32 v18, 0x1000, v2
	v_lshl_or_b32 v19, v11, 12, v2
	v_cndmask_b32_e64 v2, 0, 1, vcc_lo
	v_cmp_ne_u32_e32 vcc_lo, 0, v4
	v_add_nc_u32_e32 v15, 0xfffffc10, v15
	v_med3_i32 v14, v20, 0, 13
	v_and_or_b32 v8, 0xffe, v16, v8
	v_med3_i32 v16, v21, 0, 13
	v_or_b32_e32 v20, 0x1000, v4
	v_lshl_or_b32 v21, v13, 12, v4
	v_cndmask_b32_e64 v4, 0, 1, vcc_lo
	v_cmp_ne_u32_e32 vcc_lo, 0, v6
	v_lshrrev_b32_e32 v26, v10, v18
	v_add_nc_u32_e32 v17, 0xfffffc10, v17
	v_or_b32_e32 v22, 0x1000, v6
	v_lshl_or_b32 v23, v15, 12, v6
	v_cndmask_b32_e64 v6, 0, 1, vcc_lo
	v_cmp_ne_u32_e32 vcc_lo, 0, v8
	v_lshrrev_b32_e32 v27, v12, v20
	v_lshlrev_b32_e32 v10, v10, v26
	v_or_b32_e32 v24, 0x1000, v8
	v_lshl_or_b32 v25, v17, 12, v8
	v_cndmask_b32_e64 v8, 0, 1, vcc_lo
	v_lshrrev_b32_e32 v28, v14, v22
	v_lshlrev_b32_e32 v12, v12, v27
	v_cmp_ne_u32_e32 vcc_lo, v10, v18
	v_lshrrev_b32_e32 v29, v16, v24
	v_lshl_or_b32 v2, v2, 9, 0x7c00
	v_lshlrev_b32_e32 v14, v14, v28
	v_lshl_or_b32 v6, v6, 9, 0x7c00
	v_cndmask_b32_e64 v10, 0, 1, vcc_lo
	v_cmp_ne_u32_e32 vcc_lo, v12, v20
	v_lshlrev_b32_e32 v16, v16, v29
	v_lshl_or_b32 v4, v4, 9, 0x7c00
	v_lshrrev_b32_e32 v3, 16, v3
	v_or_b32_e32 v10, v26, v10
	v_cndmask_b32_e64 v12, 0, 1, vcc_lo
	v_cmp_ne_u32_e32 vcc_lo, v14, v22
	v_lshrrev_b32_e32 v7, 16, v7
	v_lshl_or_b32 v8, v8, 9, 0x7c00
	v_lshrrev_b32_e32 v5, 16, v5
	v_or_b32_e32 v12, v27, v12
	v_cndmask_b32_e64 v14, 0, 1, vcc_lo
	v_cmp_ne_u32_e32 vcc_lo, v16, v24
	v_lshrrev_b32_e32 v9, 16, v9
	v_or_b32_e32 v14, v28, v14
	v_cndmask_b32_e64 v16, 0, 1, vcc_lo
	v_cmp_gt_i32_e32 vcc_lo, 1, v11
	v_or_b32_e32 v16, v29, v16
	v_cndmask_b32_e32 v10, v19, v10, vcc_lo
	v_cmp_gt_i32_e32 vcc_lo, 1, v13
	v_and_b32_e32 v18, 7, v10
	v_cndmask_b32_e32 v12, v21, v12, vcc_lo
	v_cmp_gt_i32_e32 vcc_lo, 1, v15
	v_lshrrev_b32_e32 v10, 2, v10
	v_cmp_eq_u32_e64 s0, 3, v18
	v_and_b32_e32 v19, 7, v12
	v_cndmask_b32_e32 v14, v23, v14, vcc_lo
	v_cmp_gt_i32_e32 vcc_lo, 1, v17
	v_lshrrev_b32_e32 v12, 2, v12
	v_cmp_lt_i32_e64 s1, 5, v19
	v_and_b32_e32 v20, 7, v14
	v_cndmask_b32_e32 v16, v25, v16, vcc_lo
	v_cmp_lt_i32_e32 vcc_lo, 5, v18
	v_cmp_eq_u32_e64 s2, 3, v19
	v_lshrrev_b32_e32 v14, 2, v14
	v_cmp_lt_i32_e64 s3, 5, v20
	v_and_b32_e32 v21, 7, v16
	s_or_b32 vcc_lo, s0, vcc_lo
	v_cmp_eq_u32_e64 s4, 3, v20
	v_add_co_ci_u32_e32 v10, vcc_lo, 0, v10, vcc_lo
	s_or_b32 vcc_lo, s2, s1
	v_cmp_lt_i32_e64 s5, 5, v21
	v_cmp_eq_u32_e64 s6, 3, v21
	v_add_co_ci_u32_e32 v12, vcc_lo, 0, v12, vcc_lo
	v_lshrrev_b32_e32 v16, 2, v16
	s_or_b32 vcc_lo, s4, s3
	v_add_co_ci_u32_e32 v14, vcc_lo, 0, v14, vcc_lo
	s_or_b32 vcc_lo, s6, s5
	v_add_co_ci_u32_e32 v16, vcc_lo, 0, v16, vcc_lo
	v_cmp_gt_i32_e32 vcc_lo, 31, v11
	v_cndmask_b32_e32 v10, 0x7c00, v10, vcc_lo
	v_cmp_gt_i32_e32 vcc_lo, 31, v13
	v_cndmask_b32_e32 v12, 0x7c00, v12, vcc_lo
	;; [unrolled: 2-line block ×4, first 2 shown]
	v_cmp_eq_u32_e32 vcc_lo, 0x40f, v11
	v_cndmask_b32_e32 v2, v10, v2, vcc_lo
	v_cmp_eq_u32_e32 vcc_lo, 0x40f, v15
	v_and_or_b32 v2, 0x8000, v3, v2
	v_cndmask_b32_e32 v6, v14, v6, vcc_lo
	v_cmp_eq_u32_e32 vcc_lo, 0x40f, v13
	v_and_or_b32 v3, 0x8000, v7, v6
	v_cndmask_b32_e32 v4, v12, v4, vcc_lo
	v_cmp_eq_u32_e32 vcc_lo, 0x40f, v17
	v_and_b32_e32 v6, 0xffff, v2
	v_and_b32_e32 v7, 0xffff, v3
	v_and_or_b32 v4, 0x8000, v5, v4
	v_cndmask_b32_e32 v8, v16, v8, vcc_lo
	v_add_co_u32 v0, vcc_lo, v0, s8
	v_add_co_ci_u32_e32 v1, vcc_lo, s9, v1, vcc_lo
	v_and_or_b32 v5, 0x8000, v9, v8
	v_add_co_u32 v2, vcc_lo, v0, s10
	v_lshl_or_b32 v4, v4, 16, v6
	v_add_co_ci_u32_e32 v3, vcc_lo, s11, v1, vcc_lo
	v_lshl_or_b32 v5, v5, 16, v7
	global_store_dword v[0:1], v4, off
	global_store_dword v[2:3], v5, off
.LBB0_23:
	s_endpgm
	.section	.rodata,"a",@progbits
	.p2align	6, 0x0
	.amdhsa_kernel bluestein_single_back_len1274_dim1_half_op_CI_CI
		.amdhsa_group_segment_fixed_size 5096
		.amdhsa_private_segment_fixed_size 0
		.amdhsa_kernarg_size 104
		.amdhsa_user_sgpr_count 6
		.amdhsa_user_sgpr_private_segment_buffer 1
		.amdhsa_user_sgpr_dispatch_ptr 0
		.amdhsa_user_sgpr_queue_ptr 0
		.amdhsa_user_sgpr_kernarg_segment_ptr 1
		.amdhsa_user_sgpr_dispatch_id 0
		.amdhsa_user_sgpr_flat_scratch_init 0
		.amdhsa_user_sgpr_private_segment_size 0
		.amdhsa_wavefront_size32 1
		.amdhsa_uses_dynamic_stack 0
		.amdhsa_system_sgpr_private_segment_wavefront_offset 0
		.amdhsa_system_sgpr_workgroup_id_x 1
		.amdhsa_system_sgpr_workgroup_id_y 0
		.amdhsa_system_sgpr_workgroup_id_z 0
		.amdhsa_system_sgpr_workgroup_info 0
		.amdhsa_system_vgpr_workitem_id 0
		.amdhsa_next_free_vgpr 203
		.amdhsa_next_free_sgpr 16
		.amdhsa_reserve_vcc 1
		.amdhsa_reserve_flat_scratch 0
		.amdhsa_float_round_mode_32 0
		.amdhsa_float_round_mode_16_64 0
		.amdhsa_float_denorm_mode_32 3
		.amdhsa_float_denorm_mode_16_64 3
		.amdhsa_dx10_clamp 1
		.amdhsa_ieee_mode 1
		.amdhsa_fp16_overflow 0
		.amdhsa_workgroup_processor_mode 1
		.amdhsa_memory_ordered 1
		.amdhsa_forward_progress 0
		.amdhsa_shared_vgpr_count 0
		.amdhsa_exception_fp_ieee_invalid_op 0
		.amdhsa_exception_fp_denorm_src 0
		.amdhsa_exception_fp_ieee_div_zero 0
		.amdhsa_exception_fp_ieee_overflow 0
		.amdhsa_exception_fp_ieee_underflow 0
		.amdhsa_exception_fp_ieee_inexact 0
		.amdhsa_exception_int_div_zero 0
	.end_amdhsa_kernel
	.text
.Lfunc_end0:
	.size	bluestein_single_back_len1274_dim1_half_op_CI_CI, .Lfunc_end0-bluestein_single_back_len1274_dim1_half_op_CI_CI
                                        ; -- End function
	.section	.AMDGPU.csdata,"",@progbits
; Kernel info:
; codeLenInByte = 17860
; NumSgprs: 18
; NumVgprs: 203
; ScratchSize: 0
; MemoryBound: 0
; FloatMode: 240
; IeeeMode: 1
; LDSByteSize: 5096 bytes/workgroup (compile time only)
; SGPRBlocks: 2
; VGPRBlocks: 25
; NumSGPRsForWavesPerEU: 18
; NumVGPRsForWavesPerEU: 203
; Occupancy: 4
; WaveLimiterHint : 1
; COMPUTE_PGM_RSRC2:SCRATCH_EN: 0
; COMPUTE_PGM_RSRC2:USER_SGPR: 6
; COMPUTE_PGM_RSRC2:TRAP_HANDLER: 0
; COMPUTE_PGM_RSRC2:TGID_X_EN: 1
; COMPUTE_PGM_RSRC2:TGID_Y_EN: 0
; COMPUTE_PGM_RSRC2:TGID_Z_EN: 0
; COMPUTE_PGM_RSRC2:TIDIG_COMP_CNT: 0
	.text
	.p2alignl 6, 3214868480
	.fill 48, 4, 3214868480
	.type	__hip_cuid_b1119b7165d7a82d,@object ; @__hip_cuid_b1119b7165d7a82d
	.section	.bss,"aw",@nobits
	.globl	__hip_cuid_b1119b7165d7a82d
__hip_cuid_b1119b7165d7a82d:
	.byte	0                               ; 0x0
	.size	__hip_cuid_b1119b7165d7a82d, 1

	.ident	"AMD clang version 19.0.0git (https://github.com/RadeonOpenCompute/llvm-project roc-6.4.0 25133 c7fe45cf4b819c5991fe208aaa96edf142730f1d)"
	.section	".note.GNU-stack","",@progbits
	.addrsig
	.addrsig_sym __hip_cuid_b1119b7165d7a82d
	.amdgpu_metadata
---
amdhsa.kernels:
  - .args:
      - .actual_access:  read_only
        .address_space:  global
        .offset:         0
        .size:           8
        .value_kind:     global_buffer
      - .actual_access:  read_only
        .address_space:  global
        .offset:         8
        .size:           8
        .value_kind:     global_buffer
      - .actual_access:  read_only
        .address_space:  global
        .offset:         16
        .size:           8
        .value_kind:     global_buffer
      - .actual_access:  read_only
        .address_space:  global
        .offset:         24
        .size:           8
        .value_kind:     global_buffer
      - .actual_access:  read_only
        .address_space:  global
        .offset:         32
        .size:           8
        .value_kind:     global_buffer
      - .offset:         40
        .size:           8
        .value_kind:     by_value
      - .address_space:  global
        .offset:         48
        .size:           8
        .value_kind:     global_buffer
      - .address_space:  global
        .offset:         56
        .size:           8
        .value_kind:     global_buffer
      - .address_space:  global
        .offset:         64
        .size:           8
        .value_kind:     global_buffer
      - .address_space:  global
        .offset:         72
        .size:           8
        .value_kind:     global_buffer
      - .offset:         80
        .size:           4
        .value_kind:     by_value
      - .address_space:  global
        .offset:         88
        .size:           8
        .value_kind:     global_buffer
      - .address_space:  global
        .offset:         96
        .size:           8
        .value_kind:     global_buffer
    .group_segment_fixed_size: 5096
    .kernarg_segment_align: 8
    .kernarg_segment_size: 104
    .language:       OpenCL C
    .language_version:
      - 2
      - 0
    .max_flat_workgroup_size: 182
    .name:           bluestein_single_back_len1274_dim1_half_op_CI_CI
    .private_segment_fixed_size: 0
    .sgpr_count:     18
    .sgpr_spill_count: 0
    .symbol:         bluestein_single_back_len1274_dim1_half_op_CI_CI.kd
    .uniform_work_group_size: 1
    .uses_dynamic_stack: false
    .vgpr_count:     203
    .vgpr_spill_count: 0
    .wavefront_size: 32
    .workgroup_processor_mode: 1
amdhsa.target:   amdgcn-amd-amdhsa--gfx1030
amdhsa.version:
  - 1
  - 2
...

	.end_amdgpu_metadata
